;; amdgpu-corpus repo=ROCm/rocFFT kind=compiled arch=gfx950 opt=O3
	.text
	.amdgcn_target "amdgcn-amd-amdhsa--gfx950"
	.amdhsa_code_object_version 6
	.protected	bluestein_single_fwd_len1456_dim1_dp_op_CI_CI ; -- Begin function bluestein_single_fwd_len1456_dim1_dp_op_CI_CI
	.globl	bluestein_single_fwd_len1456_dim1_dp_op_CI_CI
	.p2align	8
	.type	bluestein_single_fwd_len1456_dim1_dp_op_CI_CI,@function
bluestein_single_fwd_len1456_dim1_dp_op_CI_CI: ; @bluestein_single_fwd_len1456_dim1_dp_op_CI_CI
; %bb.0:
	s_load_dwordx4 s[8:11], s[0:1], 0x28
	v_mul_u32_u24_e32 v1, 0x169, v0
	v_add_u32_sdwa v246, s2, v1 dst_sel:DWORD dst_unused:UNUSED_PAD src0_sel:DWORD src1_sel:WORD_1
	v_mov_b32_e32 v247, 0
	s_waitcnt lgkmcnt(0)
	v_cmp_gt_u64_e32 vcc, s[8:9], v[246:247]
	s_and_saveexec_b64 s[2:3], vcc
	s_cbranch_execz .LBB0_23
; %bb.1:
	s_load_dwordx2 s[8:9], s[0:1], 0x0
	s_load_dwordx2 s[12:13], s[0:1], 0x38
	s_movk_i32 s2, 0xb6
	v_mul_lo_u16_sdwa v1, v1, s2 dst_sel:DWORD dst_unused:UNUSED_PAD src0_sel:WORD_1 src1_sel:DWORD
	v_sub_u16_e32 v247, v0, v1
	s_movk_i32 s2, 0x70
	v_cmp_gt_u16_e32 vcc, s2, v247
	v_lshlrev_b32_e32 v180, 4, v247
	s_and_saveexec_b64 s[14:15], vcc
	s_cbranch_execz .LBB0_3
; %bb.2:
	s_load_dwordx2 s[2:3], s[0:1], 0x18
	v_mov_b32_e32 v0, s10
	v_mov_b32_e32 v1, s11
	;; [unrolled: 1-line block ×4, first 2 shown]
	s_waitcnt lgkmcnt(0)
	s_load_dwordx4 s[4:7], s[2:3], 0x0
	v_lshl_add_u64 v[40:41], s[8:9], 0, v[180:181]
	v_or_b32_e32 v68, 0x380, v247
	v_mov_b32_e32 v72, 0xe00
	s_waitcnt lgkmcnt(0)
	v_mad_u64_u32 v[2:3], s[2:3], s6, v246, 0
	v_mad_u64_u32 v[4:5], s[2:3], s4, v247, 0
	v_mov_b32_e32 v6, v3
	v_mov_b32_e32 v8, v5
	v_mad_u64_u32 v[6:7], s[2:3], s7, v246, v[6:7]
	v_mov_b32_e32 v3, v6
	v_mad_u64_u32 v[6:7], s[2:3], s5, v247, v[8:9]
	v_mov_b32_e32 v5, v6
	v_lshl_add_u64 v[42:43], v[2:3], 4, v[0:1]
	v_lshl_add_u64 v[4:5], v[4:5], 4, v[42:43]
	v_mad_u64_u32 v[24:25], s[2:3], s4, v102, v[4:5]
	s_mul_i32 s6, s5, 0x700
	v_add_u32_e32 v25, s6, v25
	v_mad_u64_u32 v[26:27], s[2:3], s4, v102, v[24:25]
	v_add_u32_e32 v27, s6, v27
	v_mad_u64_u32 v[44:45], s[2:3], s4, v102, v[26:27]
	s_movk_i32 s2, 0x1000
	v_add_u32_e32 v45, s6, v45
	v_add_co_u32_e64 v46, s[2:3], s2, v40
	s_movk_i32 s7, 0x3000
	s_nop 0
	v_addc_co_u32_e64 v47, s[2:3], 0, v41, s[2:3]
	v_mad_u64_u32 v[56:57], s[2:3], s4, v102, v[44:45]
	s_movk_i32 s2, 0x2000
	s_nop 0
	v_add_co_u32_e64 v52, s[2:3], s2, v40
	global_load_dwordx4 v[0:3], v[4:5], off
	s_nop 0
	v_addc_co_u32_e64 v53, s[2:3], 0, v41, s[2:3]
	v_add_co_u32_e64 v84, s[2:3], s7, v40
	global_load_dwordx4 v[4:7], v180, s[8:9]
	global_load_dwordx4 v[8:11], v180, s[8:9] offset:1792
	global_load_dwordx4 v[16:19], v[24:25], off
	global_load_dwordx4 v[12:15], v[26:27], off
	global_load_dwordx4 v[20:23], v180, s[8:9] offset:3584
	v_add_u32_e32 v57, s6, v57
	global_load_dwordx4 v[28:31], v[46:47], off offset:1280
	global_load_dwordx4 v[24:27], v[46:47], off offset:3072
	global_load_dwordx4 v[36:39], v[44:45], off
	global_load_dwordx4 v[32:35], v[56:57], off
	v_addc_co_u32_e64 v85, s[2:3], 0, v41, s[2:3]
	global_load_dwordx4 v[44:47], v[52:53], off offset:768
	global_load_dwordx4 v[48:51], v[52:53], off offset:2560
	v_mad_u64_u32 v[52:53], s[2:3], s4, v68, 0
	v_mov_b32_e32 v54, v53
	v_mad_u64_u32 v[54:55], s[2:3], s5, v68, v[54:55]
	v_mov_b32_e32 v53, v54
	v_lshl_add_u64 v[42:43], v[52:53], 4, v[42:43]
	global_load_dwordx4 v[52:55], v[42:43], off
	v_mad_u64_u32 v[42:43], s[2:3], s4, v102, v[56:57]
	v_add_u32_e32 v43, s6, v43
	global_load_dwordx4 v[56:59], v[42:43], off
	v_mad_u64_u32 v[42:43], s[2:3], s4, v102, v[42:43]
	v_add_u32_e32 v43, s6, v43
	;; [unrolled: 3-line block ×3, first 2 shown]
	global_load_dwordx4 v[64:67], v[42:43], off
	v_mad_u64_u32 v[42:43], s[2:3], s4, v72, v[42:43]
	s_mul_i32 s2, s5, 0xe00
	v_lshlrev_b32_e32 v68, 4, v68
	v_add_u32_e32 v43, s2, v43
	global_load_dwordx4 v[68:71], v68, s[8:9]
	s_nop 0
	global_load_dwordx4 v[72:75], v[42:43], off
	global_load_dwordx4 v[76:79], v[84:85], off offset:256
	global_load_dwordx4 v[80:83], v[84:85], off offset:3840
	v_mad_u64_u32 v[42:43], s[2:3], s4, v102, v[42:43]
	s_movk_i32 s2, 0x4000
	v_add_u32_e32 v43, s6, v43
	v_add_co_u32_e64 v100, s[2:3], s2, v40
	global_load_dwordx4 v[84:87], v[42:43], off
	s_nop 0
	v_addc_co_u32_e64 v101, s[2:3], 0, v41, s[2:3]
	v_mad_u64_u32 v[42:43], s[2:3], s4, v102, v[42:43]
	v_add_u32_e32 v43, s6, v43
	global_load_dwordx4 v[88:91], v[100:101], off offset:1536
	global_load_dwordx4 v[92:95], v[42:43], off
	global_load_dwordx4 v[96:99], v[100:101], off offset:3328
	v_mad_u64_u32 v[42:43], s[2:3], s4, v102, v[42:43]
	s_movk_i32 s2, 0x5000
	s_nop 0
	v_add_co_u32_e64 v40, s[2:3], s2, v40
	v_add_u32_e32 v43, s6, v43
	s_nop 0
	v_addc_co_u32_e64 v41, s[2:3], 0, v41, s[2:3]
	global_load_dwordx4 v[100:103], v[42:43], off
	s_waitcnt vmcnt(23)
	v_mul_f64 v[104:105], v[2:3], v[6:7]
	global_load_dwordx4 v[40:43], v[40:41], off offset:1024
	v_mul_f64 v[6:7], v[0:1], v[6:7]
	v_fmac_f64_e32 v[104:105], v[0:1], v[4:5]
	v_fma_f64 v[106:107], v[2:3], v[4:5], -v[6:7]
	s_waitcnt vmcnt(22)
	v_mul_f64 v[0:1], v[18:19], v[10:11]
	v_mul_f64 v[2:3], v[16:17], v[10:11]
	v_fmac_f64_e32 v[0:1], v[16:17], v[8:9]
	v_fma_f64 v[2:3], v[18:19], v[8:9], -v[2:3]
	ds_write_b128 v180, v[0:3] offset:1792
	s_waitcnt vmcnt(20)
	v_mul_f64 v[0:1], v[14:15], v[22:23]
	v_mul_f64 v[2:3], v[12:13], v[22:23]
	v_fmac_f64_e32 v[0:1], v[12:13], v[20:21]
	v_fma_f64 v[2:3], v[14:15], v[20:21], -v[2:3]
	ds_write_b128 v180, v[0:3] offset:3584
	s_waitcnt vmcnt(17)
	v_mul_f64 v[0:1], v[38:39], v[30:31]
	v_mul_f64 v[2:3], v[36:37], v[30:31]
	v_fmac_f64_e32 v[0:1], v[36:37], v[28:29]
	v_fma_f64 v[2:3], v[38:39], v[28:29], -v[2:3]
	ds_write_b128 v180, v[0:3] offset:5376
	s_waitcnt vmcnt(16)
	v_mul_f64 v[0:1], v[34:35], v[26:27]
	v_mul_f64 v[2:3], v[32:33], v[26:27]
	v_fmac_f64_e32 v[0:1], v[32:33], v[24:25]
	v_fma_f64 v[2:3], v[34:35], v[24:25], -v[2:3]
	ds_write_b128 v180, v[0:3] offset:7168
	s_waitcnt vmcnt(12)
	v_mul_f64 v[0:1], v[58:59], v[46:47]
	v_mul_f64 v[2:3], v[56:57], v[46:47]
	v_fmac_f64_e32 v[0:1], v[56:57], v[44:45]
	v_fma_f64 v[2:3], v[58:59], v[44:45], -v[2:3]
	ds_write_b128 v180, v[0:3] offset:8960
	s_waitcnt vmcnt(11)
	v_mul_f64 v[0:1], v[62:63], v[50:51]
	v_mul_f64 v[2:3], v[60:61], v[50:51]
	v_fmac_f64_e32 v[0:1], v[60:61], v[48:49]
	v_fma_f64 v[2:3], v[62:63], v[48:49], -v[2:3]
	ds_write_b128 v180, v[0:3] offset:10752
	s_waitcnt vmcnt(7)
	v_mul_f64 v[0:1], v[66:67], v[78:79]
	v_mul_f64 v[2:3], v[64:65], v[78:79]
	v_fmac_f64_e32 v[0:1], v[64:65], v[76:77]
	v_fma_f64 v[2:3], v[66:67], v[76:77], -v[2:3]
	ds_write_b128 v180, v[0:3] offset:12544
	v_mul_f64 v[0:1], v[54:55], v[70:71]
	v_mul_f64 v[2:3], v[52:53], v[70:71]
	v_fmac_f64_e32 v[0:1], v[52:53], v[68:69]
	v_fma_f64 v[2:3], v[54:55], v[68:69], -v[2:3]
	ds_write_b128 v180, v[0:3] offset:14336
	s_waitcnt vmcnt(6)
	v_mul_f64 v[0:1], v[74:75], v[82:83]
	v_mul_f64 v[2:3], v[72:73], v[82:83]
	v_fmac_f64_e32 v[0:1], v[72:73], v[80:81]
	v_fma_f64 v[2:3], v[74:75], v[80:81], -v[2:3]
	ds_write_b128 v180, v[0:3] offset:16128
	s_waitcnt vmcnt(4)
	;; [unrolled: 6-line block ×3, first 2 shown]
	v_mul_f64 v[0:1], v[94:95], v[98:99]
	v_mul_f64 v[2:3], v[92:93], v[98:99]
	v_fmac_f64_e32 v[0:1], v[92:93], v[96:97]
	v_fma_f64 v[2:3], v[94:95], v[96:97], -v[2:3]
	ds_write_b128 v180, v[0:3] offset:19712
	ds_write_b128 v180, v[104:107]
	s_waitcnt vmcnt(0)
	v_mul_f64 v[0:1], v[102:103], v[42:43]
	v_mul_f64 v[2:3], v[100:101], v[42:43]
	v_fmac_f64_e32 v[0:1], v[100:101], v[40:41]
	v_fma_f64 v[2:3], v[102:103], v[40:41], -v[2:3]
	ds_write_b128 v180, v[0:3] offset:21504
.LBB0_3:
	s_or_b64 exec, exec, s[14:15]
	s_load_dwordx2 s[4:5], s[0:1], 0x20
	s_load_dwordx2 s[2:3], s[0:1], 0x8
	s_waitcnt lgkmcnt(0)
	s_barrier
	s_waitcnt lgkmcnt(0)
                                        ; implicit-def: $vgpr0_vgpr1
                                        ; implicit-def: $vgpr4_vgpr5
                                        ; implicit-def: $vgpr16_vgpr17
                                        ; implicit-def: $vgpr24_vgpr25
                                        ; implicit-def: $vgpr32_vgpr33
                                        ; implicit-def: $vgpr36_vgpr37
                                        ; implicit-def: $vgpr40_vgpr41
                                        ; implicit-def: $vgpr44_vgpr45
                                        ; implicit-def: $vgpr48_vgpr49
                                        ; implicit-def: $vgpr28_vgpr29
                                        ; implicit-def: $vgpr20_vgpr21
                                        ; implicit-def: $vgpr12_vgpr13
                                        ; implicit-def: $vgpr8_vgpr9
	s_and_saveexec_b64 s[0:1], vcc
	s_cbranch_execz .LBB0_5
; %bb.4:
	ds_read_b128 v[0:3], v180
	ds_read_b128 v[8:11], v180 offset:1792
	ds_read_b128 v[12:15], v180 offset:3584
	;; [unrolled: 1-line block ×12, first 2 shown]
.LBB0_5:
	s_or_b64 exec, exec, s[0:1]
	s_mov_b32 s26, 0x4267c47c
	s_waitcnt lgkmcnt(0)
	v_add_f64 v[52:53], v[10:11], -v[50:51]
	s_mov_b32 s0, 0xe00740e9
	s_mov_b32 s27, 0xbfddbe06
	v_add_f64 v[56:57], v[48:49], v[8:9]
	s_mov_b32 s1, 0x3fec55a7
	v_mul_f64 v[62:63], v[52:53], s[26:27]
	v_fma_f64 v[54:55], s[0:1], v[56:57], v[62:63]
	s_mov_b32 s22, 0x42a4c3d2
	v_add_f64 v[66:67], v[0:1], v[54:55]
	s_mov_b32 s6, 0x1ea71119
	s_mov_b32 s23, 0xbfea55e2
	v_add_f64 v[54:55], v[14:15], -v[46:47]
	v_add_f64 v[110:111], v[8:9], -v[48:49]
	s_mov_b32 s7, 0x3fe22d96
	v_add_f64 v[108:109], v[44:45], v[12:13]
	v_mul_f64 v[64:65], v[54:55], s[22:23]
	v_add_f64 v[58:59], v[50:51], v[10:11]
	v_mul_f64 v[244:245], v[110:111], s[26:27]
	v_fma_f64 v[68:69], s[6:7], v[108:109], v[64:65]
	v_add_f64 v[70:71], v[68:69], v[66:67]
	v_fma_f64 v[66:67], v[58:59], s[0:1], -v[244:245]
	v_add_f64 v[164:165], v[12:13], -v[44:45]
	v_add_f64 v[68:69], v[2:3], v[66:67]
	v_add_f64 v[114:115], v[46:47], v[14:15]
	v_mul_f64 v[66:67], v[164:165], s[22:23]
	s_mov_b32 s24, 0x66966769
	v_fma_f64 v[72:73], v[114:115], s[6:7], -v[66:67]
	s_mov_b32 s10, 0xebaa3ed8
	s_mov_b32 s25, 0xbfefc445
	v_add_f64 v[188:189], v[6:7], -v[42:43]
	v_add_f64 v[72:73], v[72:73], v[68:69]
	s_mov_b32 s11, 0x3fbedb7d
	v_add_f64 v[118:119], v[4:5], v[40:41]
	v_mul_f64 v[68:69], v[188:189], s[24:25]
	v_fma_f64 v[74:75], s[10:11], v[118:119], v[68:69]
	v_add_f64 v[184:185], v[4:5], -v[40:41]
	s_mov_b32 s28, 0x2ef20147
	v_add_f64 v[74:75], v[74:75], v[70:71]
	v_add_f64 v[124:125], v[6:7], v[42:43]
	v_mul_f64 v[70:71], v[184:185], s[24:25]
	s_mov_b32 s18, 0xb2365da1
	s_mov_b32 s29, 0xbfedeba7
	v_add_f64 v[202:203], v[18:19], -v[38:39]
	v_fma_f64 v[76:77], v[124:125], s[10:11], -v[70:71]
	s_mov_b32 s19, 0xbfd6b1d8
	v_add_f64 v[128:129], v[16:17], v[36:37]
	v_mul_f64 v[92:93], v[202:203], s[28:29]
	v_add_f64 v[198:199], v[16:17], -v[36:37]
	s_mov_b32 s30, 0x24c2f84
	v_add_f64 v[72:73], v[76:77], v[72:73]
	v_fma_f64 v[76:77], s[18:19], v[128:129], v[92:93]
	v_add_f64 v[132:133], v[18:19], v[38:39]
	v_mul_f64 v[94:95], v[198:199], s[28:29]
	s_mov_b32 s14, 0xd0032e0c
	s_mov_b32 s31, 0xbfe5384d
	v_add_f64 v[212:213], v[22:23], -v[34:35]
	v_add_f64 v[74:75], v[76:77], v[74:75]
	v_fma_f64 v[76:77], v[132:133], s[18:19], -v[94:95]
	s_mov_b32 s15, 0xbfe7f3cc
	v_add_f64 v[138:139], v[32:33], v[20:21]
	v_mul_f64 v[96:97], v[212:213], s[30:31]
	v_add_f64 v[210:211], v[20:21], -v[32:33]
	s_mov_b32 s34, 0x4bc48dbf
	v_add_f64 v[72:73], v[76:77], v[72:73]
	v_fma_f64 v[76:77], s[14:15], v[138:139], v[96:97]
	v_add_f64 v[142:143], v[34:35], v[22:23]
	v_mul_f64 v[98:99], v[210:211], s[30:31]
	s_mov_b32 s20, 0x93053d00
	s_mov_b32 s35, 0xbfcea1e5
	v_add_f64 v[218:219], v[30:31], -v[26:27]
	v_add_f64 v[74:75], v[76:77], v[74:75]
	v_fma_f64 v[76:77], v[142:143], s[14:15], -v[98:99]
	s_mov_b32 s21, 0xbfef11f4
	v_add_f64 v[144:145], v[24:25], v[28:29]
	v_mul_f64 v[100:101], v[218:219], s[34:35]
	v_add_f64 v[216:217], v[28:29], -v[24:25]
	v_add_f64 v[76:77], v[76:77], v[72:73]
	v_fma_f64 v[72:73], s[20:21], v[144:145], v[100:101]
	v_add_f64 v[148:149], v[26:27], v[30:31]
	v_mul_f64 v[102:103], v[216:217], s[34:35]
	v_add_f64 v[72:73], v[72:73], v[74:75]
	v_fma_f64 v[74:75], v[148:149], s[20:21], -v[102:103]
	v_mul_f64 v[104:105], v[52:53], s[22:23]
	v_add_f64 v[74:75], v[74:75], v[76:77]
	v_fma_f64 v[76:77], s[6:7], v[56:57], v[104:105]
	v_mul_f64 v[106:107], v[54:55], s[28:29]
	v_add_f64 v[76:77], v[0:1], v[76:77]
	v_fma_f64 v[78:79], s[18:19], v[108:109], v[106:107]
	v_mul_f64 v[116:117], v[110:111], s[22:23]
	v_add_f64 v[76:77], v[78:79], v[76:77]
	v_fma_f64 v[78:79], v[58:59], s[6:7], -v[116:117]
	v_mul_f64 v[122:123], v[164:165], s[28:29]
	v_add_f64 v[78:79], v[2:3], v[78:79]
	v_fma_f64 v[80:81], v[114:115], s[18:19], -v[122:123]
	v_mul_f64 v[112:113], v[188:189], s[34:35]
	v_add_f64 v[78:79], v[80:81], v[78:79]
	v_fma_f64 v[80:81], s[20:21], v[118:119], v[112:113]
	v_mul_f64 v[126:127], v[184:185], s[34:35]
	s_mov_b32 s41, 0x3fe5384d
	s_mov_b32 s40, s30
	v_add_f64 v[76:77], v[80:81], v[76:77]
	v_fma_f64 v[80:81], v[124:125], s[20:21], -v[126:127]
	v_mul_f64 v[120:121], v[202:203], s[40:41]
	v_add_f64 v[78:79], v[80:81], v[78:79]
	v_fma_f64 v[80:81], s[14:15], v[128:129], v[120:121]
	v_mul_f64 v[134:135], v[198:199], s[40:41]
	s_mov_b32 s39, 0x3fefc445
	s_mov_b32 s38, s24
	v_add_f64 v[76:77], v[80:81], v[76:77]
	v_fma_f64 v[80:81], v[132:133], s[14:15], -v[134:135]
	v_mul_f64 v[130:131], v[212:213], s[38:39]
	v_add_f64 v[78:79], v[80:81], v[78:79]
	v_fma_f64 v[80:81], s[10:11], v[138:139], v[130:131]
	v_mul_f64 v[140:141], v[210:211], s[38:39]
	s_mov_b32 s37, 0x3fddbe06
	s_mov_b32 s36, s26
	v_add_f64 v[76:77], v[80:81], v[76:77]
	v_fma_f64 v[80:81], v[142:143], s[10:11], -v[140:141]
	v_mul_f64 v[136:137], v[218:219], s[36:37]
	v_add_f64 v[78:79], v[80:81], v[78:79]
	v_fma_f64 v[80:81], s[0:1], v[144:145], v[136:137]
	v_mul_f64 v[146:147], v[216:217], s[36:37]
	v_add_f64 v[76:77], v[80:81], v[76:77]
	v_fma_f64 v[80:81], v[148:149], s[0:1], -v[146:147]
	v_mul_f64 v[150:151], v[52:53], s[24:25]
	v_add_f64 v[78:79], v[80:81], v[78:79]
	v_fma_f64 v[80:81], s[10:11], v[56:57], v[150:151]
	v_mul_f64 v[152:153], v[54:55], s[34:35]
	v_add_f64 v[80:81], v[0:1], v[80:81]
	v_fma_f64 v[82:83], s[20:21], v[108:109], v[152:153]
	v_mul_f64 v[156:157], v[110:111], s[24:25]
	v_add_f64 v[80:81], v[82:83], v[80:81]
	v_fma_f64 v[82:83], v[58:59], s[10:11], -v[156:157]
	v_mul_f64 v[160:161], v[164:165], s[34:35]
	s_mov_b32 s43, 0x3fedeba7
	s_mov_b32 s42, s28
	v_add_f64 v[82:83], v[2:3], v[82:83]
	v_fma_f64 v[84:85], v[114:115], s[20:21], -v[160:161]
	v_mul_f64 v[154:155], v[188:189], s[42:43]
	v_add_f64 v[82:83], v[84:85], v[82:83]
	v_fma_f64 v[84:85], s[18:19], v[118:119], v[154:155]
	v_mul_f64 v[166:167], v[184:185], s[42:43]
	v_add_f64 v[80:81], v[84:85], v[80:81]
	v_fma_f64 v[84:85], v[124:125], s[18:19], -v[166:167]
	v_mul_f64 v[158:159], v[202:203], s[36:37]
	v_add_f64 v[82:83], v[84:85], v[82:83]
	v_fma_f64 v[84:85], s[0:1], v[128:129], v[158:159]
	v_mul_f64 v[170:171], v[198:199], s[36:37]
	;; [unrolled: 6-line block ×5, first 2 shown]
	v_add_f64 v[84:85], v[0:1], v[84:85]
	v_fma_f64 v[86:87], s[14:15], v[108:109], v[178:179]
	v_mul_f64 v[192:193], v[110:111], s[28:29]
	v_add_f64 v[84:85], v[86:87], v[84:85]
	v_fma_f64 v[86:87], v[58:59], s[18:19], -v[192:193]
	v_mul_f64 v[196:197], v[164:165], s[40:41]
	v_add_f64 v[86:87], v[2:3], v[86:87]
	v_fma_f64 v[88:89], v[114:115], s[14:15], -v[196:197]
	v_mul_f64 v[182:183], v[188:189], s[36:37]
	v_add_f64 v[86:87], v[88:89], v[86:87]
	v_fma_f64 v[88:89], s[0:1], v[118:119], v[182:183]
	v_mul_f64 v[200:201], v[184:185], s[36:37]
	v_add_f64 v[84:85], v[88:89], v[84:85]
	v_fma_f64 v[88:89], v[124:125], s[0:1], -v[200:201]
	v_mul_f64 v[186:187], v[202:203], s[24:25]
	v_add_f64 v[86:87], v[88:89], v[86:87]
	v_fma_f64 v[88:89], s[10:11], v[128:129], v[186:187]
	v_mul_f64 v[204:205], v[198:199], s[24:25]
	s_mov_b32 s47, 0x3fcea1e5
	s_mov_b32 s46, s34
	v_add_f64 v[84:85], v[88:89], v[84:85]
	v_fma_f64 v[88:89], v[132:133], s[10:11], -v[204:205]
	v_mul_f64 v[190:191], v[212:213], s[46:47]
	v_add_f64 v[86:87], v[88:89], v[86:87]
	v_fma_f64 v[88:89], s[20:21], v[138:139], v[190:191]
	v_mul_f64 v[206:207], v[210:211], s[46:47]
	s_mov_b32 s45, 0x3fea55e2
	s_mov_b32 s44, s22
	v_add_f64 v[84:85], v[88:89], v[84:85]
	v_fma_f64 v[88:89], v[142:143], s[20:21], -v[206:207]
	v_mul_f64 v[194:195], v[218:219], s[44:45]
	v_add_f64 v[86:87], v[88:89], v[86:87]
	v_fma_f64 v[88:89], s[6:7], v[144:145], v[194:195]
	v_mul_f64 v[208:209], v[216:217], s[44:45]
	v_add_f64 v[84:85], v[88:89], v[84:85]
	v_fma_f64 v[88:89], v[148:149], s[6:7], -v[208:209]
	v_mul_f64 v[214:215], v[52:53], s[30:31]
	v_add_f64 v[86:87], v[88:89], v[86:87]
	v_fma_f64 v[88:89], s[14:15], v[56:57], v[214:215]
	v_mul_f64 v[220:221], v[54:55], s[38:39]
	v_add_f64 v[88:89], v[0:1], v[88:89]
	v_fma_f64 v[90:91], s[10:11], v[108:109], v[220:221]
	v_mul_f64 v[230:231], v[110:111], s[30:31]
	v_add_f64 v[88:89], v[90:91], v[88:89]
	v_fma_f64 v[90:91], v[58:59], s[14:15], -v[230:231]
	v_mul_f64 v[232:233], v[164:165], s[38:39]
	v_add_f64 v[90:91], v[2:3], v[90:91]
	v_fma_f64 v[222:223], v[114:115], s[10:11], -v[232:233]
	v_add_f64 v[90:91], v[222:223], v[90:91]
	v_mul_f64 v[222:223], v[188:189], s[22:23]
	v_fma_f64 v[224:225], s[6:7], v[118:119], v[222:223]
	v_mul_f64 v[234:235], v[184:185], s[22:23]
	v_add_f64 v[88:89], v[224:225], v[88:89]
	v_fma_f64 v[224:225], v[124:125], s[6:7], -v[234:235]
	v_add_f64 v[90:91], v[224:225], v[90:91]
	v_mul_f64 v[224:225], v[202:203], s[46:47]
	v_fma_f64 v[226:227], s[20:21], v[128:129], v[224:225]
	;; [unrolled: 6-line block ×4, first 2 shown]
	v_add_f64 v[88:89], v[240:241], v[88:89]
	v_mul_f64 v[240:241], v[216:217], s[28:29]
	v_fma_f64 v[242:243], v[148:149], s[18:19], -v[240:241]
	v_mul_lo_u16_e32 v60, 13, v247
	v_add_f64 v[90:91], v[242:243], v[90:91]
	v_accvgpr_write_b32 a1, v60
	s_barrier
	s_and_saveexec_b64 s[16:17], vcc
	s_cbranch_execz .LBB0_7
; %bb.6:
	v_accvgpr_write_b32 a2, v244
	v_mul_f64 v[248:249], v[58:59], s[20:21]
	v_accvgpr_write_b32 a3, v245
	v_mul_f64 v[244:245], v[114:115], s[0:1]
	v_fma_f64 v[250:251], s[46:47], v[110:111], v[248:249]
	v_mul_f64 v[242:243], v[124:125], s[14:15]
	v_accvgpr_write_b32 a0, v246
	v_mov_b32_e32 v181, v247
	v_fma_f64 v[246:247], s[26:27], v[164:165], v[244:245]
	v_add_f64 v[250:251], v[2:3], v[250:251]
	v_add_f64 v[246:247], v[246:247], v[250:251]
	v_fma_f64 v[250:251], s[40:41], v[184:185], v[242:243]
	v_add_f64 v[246:247], v[250:251], v[246:247]
	v_mul_f64 v[250:251], v[132:133], s[6:7]
	v_fma_f64 v[252:253], s[22:23], v[198:199], v[250:251]
	v_add_f64 v[246:247], v[252:253], v[246:247]
	v_mul_f64 v[252:253], v[142:143], s[18:19]
	v_fma_f64 v[254:255], s[42:43], v[210:211], v[252:253]
	v_mul_f64 v[60:61], v[52:53], s[34:35]
	v_add_f64 v[246:247], v[254:255], v[246:247]
	v_mul_f64 v[254:255], v[54:55], s[36:37]
	v_fma_f64 v[52:53], s[20:21], v[56:57], v[60:61]
	v_add_f64 v[52:53], v[0:1], v[52:53]
	v_fma_f64 v[54:55], s[0:1], v[108:109], v[254:255]
	v_mul_f64 v[188:189], v[188:189], s[30:31]
	v_add_f64 v[52:53], v[54:55], v[52:53]
	v_fma_f64 v[54:55], s[14:15], v[118:119], v[188:189]
	v_mul_f64 v[202:203], v[202:203], s[44:45]
	v_add_f64 v[52:53], v[54:55], v[52:53]
	v_fma_f64 v[54:55], s[6:7], v[128:129], v[202:203]
	v_mul_f64 v[212:213], v[212:213], s[28:29]
	v_accvgpr_write_b32 a4, v62
	v_add_f64 v[52:53], v[54:55], v[52:53]
	v_fma_f64 v[54:55], s[18:19], v[138:139], v[212:213]
	v_accvgpr_write_b32 a5, v63
	v_mul_f64 v[62:63], v[148:149], s[10:11]
	v_add_f64 v[52:53], v[54:55], v[52:53]
	v_fma_f64 v[54:55], s[24:25], v[216:217], v[62:63]
	v_mul_f64 v[218:219], v[218:219], s[38:39]
	v_fmac_f64_e32 v[248:249], s[34:35], v[110:111]
	v_add_f64 v[54:55], v[54:55], v[246:247]
	v_fma_f64 v[246:247], s[10:11], v[144:145], v[218:219]
	v_fmac_f64_e32 v[250:251], s[44:45], v[198:199]
	v_fmac_f64_e32 v[244:245], s[36:37], v[164:165]
	v_add_f64 v[198:199], v[2:3], v[248:249]
	v_fma_f64 v[60:61], v[56:57], s[20:21], -v[60:61]
	v_add_f64 v[52:53], v[246:247], v[52:53]
	v_fmac_f64_e32 v[252:253], s[28:29], v[210:211]
	v_fmac_f64_e32 v[242:243], s[30:31], v[184:185]
	v_add_f64 v[210:211], v[244:245], v[198:199]
	v_fma_f64 v[246:247], v[108:109], s[0:1], -v[254:255]
	v_add_f64 v[60:61], v[0:1], v[60:61]
	v_fmac_f64_e32 v[62:63], s[38:39], v[216:217]
	v_mul_f64 v[184:185], v[56:57], s[0:1]
	v_mul_f64 v[110:111], v[56:57], s[6:7]
	v_add_f64 v[210:211], v[242:243], v[210:211]
	v_mul_f64 v[216:217], v[56:57], s[10:11]
	v_mul_f64 v[244:245], v[56:57], s[18:19]
	v_add_f64 v[60:61], v[246:247], v[60:61]
	v_mul_f64 v[248:249], v[56:57], s[14:15]
	v_fma_f64 v[56:57], v[118:119], s[14:15], -v[188:189]
	v_mul_f64 v[164:165], v[58:59], s[0:1]
	v_mul_f64 v[198:199], v[58:59], s[6:7]
	v_add_f64 v[210:211], v[250:251], v[210:211]
	v_mul_f64 v[242:243], v[58:59], s[10:11]
	v_mul_f64 v[246:247], v[58:59], s[18:19]
	v_mul_f64 v[250:251], v[58:59], s[14:15]
	v_add_f64 v[56:57], v[56:57], v[60:61]
	v_fma_f64 v[58:59], v[128:129], s[6:7], -v[202:203]
	v_add_f64 v[210:211], v[252:253], v[210:211]
	v_add_f64 v[56:57], v[58:59], v[56:57]
	v_fma_f64 v[58:59], v[138:139], s[18:19], -v[212:213]
	v_add_f64 v[56:57], v[58:59], v[56:57]
	v_add_f64 v[58:59], v[62:63], v[210:211]
	v_fma_f64 v[62:63], v[144:145], s[10:11], -v[218:219]
	v_mul_f64 v[218:219], v[132:133], s[20:21]
	v_add_f64 v[218:219], v[236:237], v[218:219]
	v_mul_f64 v[236:237], v[124:125], s[6:7]
	v_add_f64 v[234:235], v[234:235], v[236:237]
	;; [unrolled: 2-line block ×3, first 2 shown]
	v_add_f64 v[232:233], v[232:233], v[236:237]
	v_add_f64 v[230:231], v[2:3], v[230:231]
	;; [unrolled: 1-line block ×3, first 2 shown]
	v_mul_f64 v[212:213], v[142:143], s[0:1]
	v_add_f64 v[230:231], v[234:235], v[230:231]
	v_add_f64 v[212:213], v[238:239], v[212:213]
	;; [unrolled: 1-line block ×4, first 2 shown]
	v_mul_f64 v[218:219], v[144:145], s[18:19]
	v_add_f64 v[218:219], v[218:219], -v[228:229]
	v_mul_f64 v[228:229], v[138:139], s[0:1]
	v_mul_f64 v[188:189], v[108:109], s[6:7]
	;; [unrolled: 1-line block ×6, first 2 shown]
	v_add_f64 v[226:227], v[228:229], -v[226:227]
	v_mul_f64 v[228:229], v[128:129], s[20:21]
	v_add_f64 v[214:215], v[248:249], -v[214:215]
	v_add_f64 v[224:225], v[228:229], -v[224:225]
	v_mul_f64 v[228:229], v[118:119], s[6:7]
	v_add_f64 v[108:109], v[108:109], -v[220:221]
	v_add_f64 v[214:215], v[0:1], v[214:215]
	v_add_f64 v[222:223], v[228:229], -v[222:223]
	v_add_f64 v[108:109], v[108:109], v[214:215]
	v_add_f64 v[108:109], v[222:223], v[108:109]
	v_mul_f64 v[210:211], v[148:149], s[18:19]
	v_add_f64 v[108:109], v[224:225], v[108:109]
	v_add_f64 v[210:211], v[240:241], v[210:211]
	;; [unrolled: 1-line block ×3, first 2 shown]
	v_mul_f64 v[60:61], v[114:115], s[6:7]
	v_add_f64 v[56:57], v[62:63], v[56:57]
	v_mul_f64 v[62:63], v[114:115], s[18:19]
	v_mul_f64 v[238:239], v[114:115], s[20:21]
	;; [unrolled: 1-line block ×3, first 2 shown]
	v_add_f64 v[212:213], v[210:211], v[212:213]
	v_add_f64 v[210:211], v[218:219], v[108:109]
	v_mul_f64 v[218:219], v[148:149], s[6:7]
	v_add_f64 v[192:193], v[192:193], v[246:247]
	v_mul_f64 v[230:231], v[124:125], s[10:11]
	v_mul_f64 v[220:221], v[124:125], s[20:21]
	;; [unrolled: 1-line block ×4, first 2 shown]
	v_add_f64 v[208:209], v[208:209], v[218:219]
	v_mul_f64 v[218:219], v[142:143], s[20:21]
	v_add_f64 v[114:115], v[196:197], v[114:115]
	v_add_f64 v[192:193], v[2:3], v[192:193]
	;; [unrolled: 1-line block ×3, first 2 shown]
	v_mul_f64 v[218:219], v[132:133], s[10:11]
	v_add_f64 v[124:125], v[200:201], v[124:125]
	v_add_f64 v[114:115], v[114:115], v[192:193]
	;; [unrolled: 1-line block ×5, first 2 shown]
	v_mul_f64 v[234:235], v[118:119], s[10:11]
	v_mul_f64 v[228:229], v[118:119], s[20:21]
	;; [unrolled: 1-line block ×8, first 2 shown]
	v_add_f64 v[114:115], v[206:207], v[114:115]
	v_add_f64 v[176:177], v[244:245], -v[176:177]
	v_mul_f64 v[196:197], v[142:143], s[14:15]
	v_mul_f64 v[192:193], v[142:143], s[10:11]
	;; [unrolled: 1-line block ×5, first 2 shown]
	v_add_f64 v[138:139], v[138:139], -v[190:191]
	v_mul_f64 v[190:191], v[144:145], s[0:1]
	v_mul_f64 v[206:207], v[144:145], s[14:15]
	v_add_f64 v[144:145], v[208:209], v[114:115]
	v_add_f64 v[114:115], v[118:119], -v[182:183]
	v_add_f64 v[118:119], v[232:233], -v[178:179]
	v_add_f64 v[176:177], v[0:1], v[176:177]
	v_mul_f64 v[222:223], v[128:129], s[18:19]
	v_mul_f64 v[226:227], v[128:129], s[14:15]
	;; [unrolled: 1-line block ×4, first 2 shown]
	v_add_f64 v[118:119], v[118:119], v[176:177]
	v_add_f64 v[60:61], v[66:67], v[60:61]
	v_accvgpr_read_b32 v67, a3
	v_add_f64 v[128:129], v[128:129], -v[186:187]
	v_add_f64 v[114:115], v[114:115], v[118:119]
	v_accvgpr_read_b32 v66, a2
	v_add_f64 v[114:115], v[128:129], v[114:115]
	v_add_f64 v[66:67], v[66:67], v[164:165]
	v_add_f64 v[142:143], v[142:143], -v[194:195]
	v_mul_f64 v[194:195], v[148:149], s[20:21]
	v_mul_f64 v[186:187], v[148:149], s[0:1]
	;; [unrolled: 1-line block ×3, first 2 shown]
	v_add_f64 v[114:115], v[138:139], v[114:115]
	v_add_f64 v[66:67], v[2:3], v[66:67]
	;; [unrolled: 1-line block ×7, first 2 shown]
	v_mul_f64 v[224:225], v[132:133], s[18:19]
	v_mul_f64 v[108:109], v[132:133], s[14:15]
	;; [unrolled: 1-line block ×3, first 2 shown]
	v_add_f64 v[138:139], v[160:161], v[238:239]
	v_add_f64 v[148:149], v[2:3], v[148:149]
	;; [unrolled: 1-line block ×3, first 2 shown]
	v_add_f64 v[70:71], v[222:223], -v[92:93]
	v_accvgpr_read_b32 v93, a5
	v_add_f64 v[128:129], v[170:171], v[132:133]
	v_add_f64 v[132:133], v[166:167], v[214:215]
	;; [unrolled: 1-line block ×3, first 2 shown]
	v_accvgpr_read_b32 v92, a4
	v_add_f64 v[132:133], v[132:133], v[138:139]
	v_add_f64 v[138:139], v[216:217], -v[150:151]
	v_add_f64 v[116:117], v[116:117], v[198:199]
	v_add_f64 v[104:105], v[110:111], -v[104:105]
	v_add_f64 v[92:93], v[184:185], -v[92:93]
	v_add_f64 v[118:119], v[172:173], v[248:249]
	v_add_f64 v[128:129], v[128:129], v[132:133]
	v_add_f64 v[132:133], v[236:237], -v[152:153]
	v_add_f64 v[138:139], v[0:1], v[138:139]
	v_add_f64 v[116:117], v[2:3], v[116:117]
	;; [unrolled: 1-line block ×7, first 2 shown]
	v_add_f64 v[128:129], v[240:241], -v[154:155]
	v_add_f64 v[132:133], v[132:133], v[138:139]
	v_add_f64 v[2:3], v[14:15], v[2:3]
	v_add_f64 v[0:1], v[12:13], v[0:1]
	v_add_f64 v[156:157], v[114:115], v[118:119]
	v_add_f64 v[118:119], v[124:125], -v[162:163]
	v_add_f64 v[124:125], v[218:219], -v[158:159]
	v_add_f64 v[128:129], v[128:129], v[132:133]
	v_add_f64 v[2:3], v[6:7], v[2:3]
	;; [unrolled: 1-line block ×12, first 2 shown]
	v_add_f64 v[114:115], v[206:207], -v[168:169]
	v_add_f64 v[108:109], v[134:135], v[108:109]
	v_add_f64 v[62:63], v[124:125], v[62:63]
	v_add_f64 v[106:107], v[202:203], -v[106:107]
	v_add_f64 v[2:3], v[30:31], v[2:3]
	v_add_f64 v[0:1], v[28:29], v[0:1]
	;; [unrolled: 1-line block ×5, first 2 shown]
	v_add_f64 v[112:113], v[228:229], -v[112:113]
	v_add_f64 v[104:105], v[106:107], v[104:105]
	v_add_f64 v[2:3], v[26:27], v[2:3]
	;; [unrolled: 1-line block ×5, first 2 shown]
	v_add_f64 v[116:117], v[226:227], -v[120:121]
	v_add_f64 v[104:105], v[112:113], v[104:105]
	v_add_f64 v[64:65], v[188:189], -v[64:65]
	v_add_f64 v[2:3], v[34:35], v[2:3]
	v_add_f64 v[0:1], v[32:33], v[0:1]
	v_add_f64 v[108:109], v[114:115], v[62:63]
	v_add_f64 v[114:115], v[246:247], -v[130:131]
	v_add_f64 v[104:105], v[116:117], v[104:105]
	v_add_f64 v[94:95], v[94:95], v[224:225]
	v_add_f64 v[68:69], v[234:235], -v[68:69]
	v_add_f64 v[64:65], v[64:65], v[92:93]
	v_add_f64 v[2:3], v[38:39], v[2:3]
	;; [unrolled: 1-line block ×3, first 2 shown]
	v_add_f64 v[62:63], v[190:191], -v[136:137]
	v_add_f64 v[104:105], v[114:115], v[104:105]
	v_add_f64 v[98:99], v[98:99], v[196:197]
	;; [unrolled: 1-line block ×9, first 2 shown]
	v_add_f64 v[66:67], v[200:201], -v[96:97]
	v_add_f64 v[64:65], v[70:71], v[64:65]
	v_add_f64 v[2:3], v[46:47], v[2:3]
	;; [unrolled: 1-line block ×3, first 2 shown]
	v_accvgpr_read_b32 v4, a1
	v_mov_b32_e32 v247, v181
	v_accvgpr_read_b32 v246, a0
	v_add_f64 v[62:63], v[62:63], v[60:61]
	v_add_f64 v[60:61], v[204:205], -v[100:101]
	v_add_f64 v[64:65], v[66:67], v[64:65]
	v_add_f64 v[2:3], v[50:51], v[2:3]
	;; [unrolled: 1-line block ×3, first 2 shown]
	v_lshlrev_b32_e32 v4, 4, v4
	v_add_f64 v[60:61], v[60:61], v[64:65]
	ds_write_b128 v4, v[0:3]
	ds_write_b128 v4, v[60:63] offset:16
	ds_write_b128 v4, v[106:109] offset:32
	;; [unrolled: 1-line block ×12, first 2 shown]
.LBB0_7:
	s_or_b64 exec, exec, s[16:17]
	s_movk_i32 s0, 0x4f
	v_mul_lo_u16_sdwa v4, v247, s0 dst_sel:DWORD dst_unused:UNUSED_PAD src0_sel:BYTE_0 src1_sel:DWORD
	v_lshrrev_b16_e32 v5, 10, v4
	v_add_u16_e32 v2, 0xb6, v247
	v_mul_lo_u16_e32 v0, 13, v5
	v_mul_u32_u24_e32 v3, 0x4ec5, v2
	v_sub_u16_e32 v0, v247, v0
	v_lshrrev_b32_e32 v107, 18, v3
	v_and_b32_e32 v106, 0xff, v0
	v_mul_lo_u16_e32 v0, 13, v107
	v_sub_u16_e32 v108, v2, v0
	v_mad_u64_u32 v[6:7], s[0:1], v106, 48, s[2:3]
	v_mul_lo_u16_e32 v0, 48, v108
	v_mov_b32_e32 v1, 0
	s_load_dwordx4 s[4:7], s[4:5], 0x0
	s_waitcnt lgkmcnt(0)
	s_barrier
	global_load_dwordx4 v[16:19], v[6:7], off offset:16
	global_load_dwordx4 v[20:23], v[6:7], off
	global_load_dwordx4 v[32:35], v[6:7], off offset:32
	v_lshl_add_u64 v[6:7], s[2:3], 0, v[0:1]
	global_load_dwordx4 v[44:47], v[6:7], off
	global_load_dwordx4 v[40:43], v[6:7], off offset:16
	global_load_dwordx4 v[36:39], v[6:7], off offset:32
	ds_read_b128 v[6:9], v180
	ds_read_b128 v[10:13], v180 offset:2912
	ds_read_b128 v[24:27], v180 offset:5824
	;; [unrolled: 1-line block ×7, first 2 shown]
	v_mul_u32_u24_e32 v0, 52, v5
	v_add_lshl_u32 v242, v0, v106, 4
	v_mad_legacy_u16 v0, v107, 52, v108
	v_lshlrev_b32_e32 v243, 4, v0
	s_waitcnt lgkmcnt(0)
	s_barrier
	v_cmp_gt_u16_e64 s[0:1], 26, v247
                                        ; implicit-def: $vgpr124_vgpr125
	s_waitcnt vmcnt(5)
	v_mul_f64 v[66:67], v[50:51], v[18:19]
	s_waitcnt vmcnt(4)
	v_mul_f64 v[14:15], v[26:27], v[22:23]
	v_mul_f64 v[64:65], v[24:25], v[22:23]
	v_mul_f64 v[68:69], v[48:49], v[18:19]
	s_waitcnt vmcnt(3)
	v_mul_f64 v[70:71], v[58:59], v[34:35]
	v_mul_f64 v[92:93], v[56:57], v[34:35]
	s_waitcnt vmcnt(2)
	v_mul_f64 v[94:95], v[30:31], v[46:47]
	v_mul_f64 v[96:97], v[28:29], v[46:47]
	;; [unrolled: 3-line block ×4, first 2 shown]
	v_fma_f64 v[14:15], v[24:25], v[20:21], -v[14:15]
	v_fmac_f64_e32 v[64:65], v[26:27], v[20:21]
	v_fma_f64 v[24:25], v[48:49], v[16:17], -v[66:67]
	v_fmac_f64_e32 v[68:69], v[50:51], v[16:17]
	;; [unrolled: 2-line block ×6, first 2 shown]
	v_add_f64 v[24:25], v[6:7], -v[24:25]
	v_add_f64 v[50:51], v[8:9], -v[68:69]
	;; [unrolled: 1-line block ×8, first 2 shown]
	v_fma_f64 v[58:59], v[6:7], 2.0, -v[24:25]
	v_fma_f64 v[60:61], v[8:9], 2.0, -v[50:51]
	;; [unrolled: 1-line block ×4, first 2 shown]
	v_add_f64 v[6:7], v[24:25], -v[52:53]
	v_fma_f64 v[64:65], v[10:11], 2.0, -v[54:55]
	v_fma_f64 v[66:67], v[12:13], 2.0, -v[56:57]
	;; [unrolled: 1-line block ×4, first 2 shown]
	v_add_f64 v[8:9], v[50:51], v[26:27]
	v_add_f64 v[92:93], v[54:55], -v[48:49]
	v_add_f64 v[94:95], v[56:57], v[30:31]
	v_add_f64 v[10:11], v[58:59], -v[14:15]
	v_add_f64 v[12:13], v[60:61], -v[62:63]
	;; [unrolled: 1-line block ×4, first 2 shown]
	v_fma_f64 v[26:27], v[50:51], 2.0, -v[8:9]
	v_fma_f64 v[48:49], v[54:55], 2.0, -v[92:93]
	v_fma_f64 v[50:51], v[56:57], 2.0, -v[94:95]
	v_fma_f64 v[52:53], v[58:59], 2.0, -v[10:11]
	v_fma_f64 v[54:55], v[60:61], 2.0, -v[12:13]
	v_fma_f64 v[56:57], v[64:65], 2.0, -v[28:29]
	v_fma_f64 v[58:59], v[66:67], 2.0, -v[30:31]
	v_fma_f64 v[24:25], v[24:25], 2.0, -v[6:7]
	ds_write_b128 v242, v[52:55]
	ds_write_b128 v242, v[24:27] offset:208
	ds_write_b128 v242, v[10:13] offset:416
	;; [unrolled: 1-line block ×3, first 2 shown]
	ds_write_b128 v243, v[56:59]
	ds_write_b128 v243, v[48:51] offset:208
	ds_write_b128 v243, v[28:31] offset:416
	;; [unrolled: 1-line block ×3, first 2 shown]
	s_waitcnt lgkmcnt(0)
	s_barrier
	ds_read_b128 v[96:99], v180
	ds_read_b128 v[120:123], v180 offset:3328
	ds_read_b128 v[116:119], v180 offset:6656
	ds_read_b128 v[112:115], v180 offset:9984
	ds_read_b128 v[108:111], v180 offset:13312
	ds_read_b128 v[104:107], v180 offset:16640
	ds_read_b128 v[100:103], v180 offset:19968
	s_and_saveexec_b64 s[10:11], s[0:1]
	s_cbranch_execz .LBB0_9
; %bb.8:
	ds_read_b128 v[92:95], v180 offset:2912
	ds_read_b128 v[88:91], v180 offset:6240
	;; [unrolled: 1-line block ×7, first 2 shown]
.LBB0_9:
	s_or_b64 exec, exec, s[10:11]
	v_lshrrev_b16_e32 v152, 12, v4
	v_mul_lo_u16_e32 v0, 52, v152
	v_sub_u16_e32 v0, v247, v0
	v_and_b32_e32 v153, 0xff, v0
	s_movk_i32 s10, 0x60
	v_mov_b64_e32 v[4:5], s[2:3]
	v_lshrrev_b32_e32 v0, 20, v3
	v_mad_u64_u32 v[4:5], s[10:11], v153, s10, v[4:5]
	v_mul_lo_u16_e32 v0, 52, v0
	global_load_dwordx4 v[60:63], v[4:5], off offset:624
	global_load_dwordx4 v[56:59], v[4:5], off offset:640
	;; [unrolled: 1-line block ×6, first 2 shown]
	v_sub_u16_e32 v154, v2, v0
	v_mul_lo_u16_e32 v0, 0x60, v154
	v_lshl_add_u64 v[0:1], s[2:3], 0, v[0:1]
	global_load_dwordx4 v[160:163], v[0:1], off offset:624
	global_load_dwordx4 v[156:159], v[0:1], off offset:640
	;; [unrolled: 1-line block ×6, first 2 shown]
	s_mov_b32 s14, 0x37e14327
	s_mov_b32 s10, 0x36b3c0b5
	;; [unrolled: 1-line block ×20, first 2 shown]
	s_waitcnt lgkmcnt(0)
	s_barrier
	s_waitcnt vmcnt(11)
	v_mul_f64 v[0:1], v[122:123], v[62:63]
	s_waitcnt vmcnt(10)
	v_mul_f64 v[4:5], v[118:119], v[58:59]
	v_mul_f64 v[2:3], v[120:121], v[62:63]
	v_mul_f64 v[6:7], v[116:117], v[58:59]
	s_waitcnt vmcnt(7)
	v_mul_f64 v[28:29], v[102:103], v[66:67]
	s_waitcnt vmcnt(6)
	v_mul_f64 v[24:25], v[106:107], v[70:71]
	v_mul_f64 v[8:9], v[114:115], v[54:55]
	;; [unrolled: 1-line block ×5, first 2 shown]
	s_waitcnt vmcnt(3)
	v_mul_f64 v[138:139], v[80:81], v[254:255]
	s_waitcnt vmcnt(2)
	v_mul_f64 v[140:141], v[78:79], v[250:251]
	v_fma_f64 v[0:1], v[120:121], v[60:61], -v[0:1]
	v_fma_f64 v[4:5], v[116:117], v[56:57], -v[4:5]
	;; [unrolled: 1-line block ×4, first 2 shown]
	v_mul_f64 v[10:11], v[112:113], v[54:55]
	v_mul_f64 v[14:15], v[108:109], v[50:51]
	;; [unrolled: 1-line block ×4, first 2 shown]
	v_fmac_f64_e32 v[2:3], v[122:123], v[60:61]
	v_fmac_f64_e32 v[6:7], v[118:119], v[56:57]
	v_fma_f64 v[8:9], v[112:113], v[52:53], -v[8:9]
	v_fma_f64 v[12:13], v[108:109], v[48:49], -v[12:13]
	v_fmac_f64_e32 v[26:27], v[106:107], v[68:69]
	v_fmac_f64_e32 v[30:31], v[102:103], v[64:65]
	;; [unrolled: 1-line block ×3, first 2 shown]
	v_fma_f64 v[82:83], v[76:77], v[248:249], -v[140:141]
	v_add_f64 v[76:77], v[0:1], v[28:29]
	v_add_f64 v[0:1], v[0:1], -v[28:29]
	v_add_f64 v[28:29], v[4:5], v[24:25]
	v_fmac_f64_e32 v[10:11], v[114:115], v[52:53]
	v_fmac_f64_e32 v[14:15], v[110:111], v[48:49]
	;; [unrolled: 1-line block ×3, first 2 shown]
	v_add_f64 v[78:79], v[2:3], v[30:31]
	v_add_f64 v[2:3], v[2:3], -v[30:31]
	v_add_f64 v[30:31], v[6:7], v[26:27]
	v_add_f64 v[4:5], v[4:5], -v[24:25]
	;; [unrolled: 2-line block ×3, first 2 shown]
	v_add_f64 v[12:13], v[28:29], v[76:77]
	v_mul_f64 v[134:135], v[84:85], v[158:159]
	v_add_f64 v[6:7], v[6:7], -v[26:27]
	v_add_f64 v[26:27], v[10:11], v[14:15]
	v_add_f64 v[10:11], v[14:15], -v[10:11]
	v_add_f64 v[14:15], v[30:31], v[78:79]
	v_add_f64 v[100:101], v[8:9], v[4:5]
	;; [unrolled: 1-line block ×3, first 2 shown]
	v_mul_f64 v[130:131], v[88:89], v[162:163]
	v_mul_f64 v[132:133], v[86:87], v[158:159]
	v_fmac_f64_e32 v[134:135], v[86:87], v[156:157]
	v_add_f64 v[86:87], v[28:29], -v[76:77]
	v_add_f64 v[76:77], v[76:77], -v[24:25]
	;; [unrolled: 1-line block ×3, first 2 shown]
	v_add_f64 v[102:103], v[10:11], v[6:7]
	v_add_f64 v[104:105], v[8:9], -v[4:5]
	v_add_f64 v[8:9], v[0:1], -v[8:9]
	;; [unrolled: 1-line block ×3, first 2 shown]
	v_add_f64 v[14:15], v[26:27], v[14:15]
	v_add_f64 v[24:25], v[100:101], v[0:1]
	v_add_f64 v[0:1], v[96:97], v[12:13]
	v_mul_f64 v[128:129], v[90:91], v[162:163]
	v_fmac_f64_e32 v[130:131], v[90:91], v[160:161]
	v_add_f64 v[90:91], v[30:31], -v[78:79]
	v_add_f64 v[78:79], v[78:79], -v[26:27]
	;; [unrolled: 1-line block ×6, first 2 shown]
	v_add_f64 v[26:27], v[102:103], v[2:3]
	v_add_f64 v[2:3], v[98:99], v[14:15]
	v_mov_b64_e32 v[108:109], v[0:1]
	v_mul_f64 v[76:77], v[76:77], s[14:15]
	v_mul_f64 v[78:79], v[78:79], s[14:15]
	;; [unrolled: 1-line block ×8, first 2 shown]
	v_fmac_f64_e32 v[108:109], s[20:21], v[12:13]
	v_mov_b64_e32 v[12:13], v[2:3]
	s_waitcnt vmcnt(1)
	v_mul_f64 v[144:145], v[74:75], v[166:167]
	v_mul_f64 v[146:147], v[72:73], v[166:167]
	s_waitcnt vmcnt(0)
	v_mul_f64 v[148:149], v[126:127], v[170:171]
	v_mul_f64 v[150:151], v[124:125], v[170:171]
	v_fmac_f64_e32 v[12:13], s[20:21], v[14:15]
	v_fma_f64 v[14:15], v[86:87], s[22:23], -v[96:97]
	v_fma_f64 v[96:97], v[90:91], s[22:23], -v[98:99]
	;; [unrolled: 1-line block ×3, first 2 shown]
	v_fmac_f64_e32 v[76:77], s[10:11], v[28:29]
	v_fma_f64 v[28:29], v[90:91], s[24:25], -v[78:79]
	v_fmac_f64_e32 v[78:79], s[10:11], v[30:31]
	v_fma_f64 v[30:31], v[4:5], s[16:17], -v[100:101]
	v_fma_f64 v[90:91], v[6:7], s[16:17], -v[102:103]
	;; [unrolled: 1-line block ×7, first 2 shown]
	v_fmac_f64_e32 v[146:147], v[74:75], v[164:165]
	v_fma_f64 v[74:75], v[124:125], v[168:169], -v[148:149]
	v_fmac_f64_e32 v[150:151], v[126:127], v[168:169]
	v_fmac_f64_e32 v[100:101], s[26:27], v[8:9]
	;; [unrolled: 1-line block ×3, first 2 shown]
	v_add_f64 v[76:77], v[76:77], v[108:109]
	v_add_f64 v[106:107], v[14:15], v[108:109]
	;; [unrolled: 1-line block ×5, first 2 shown]
	v_fmac_f64_e32 v[30:31], s[28:29], v[24:25]
	v_fmac_f64_e32 v[90:91], s[28:29], v[26:27]
	;; [unrolled: 1-line block ×4, first 2 shown]
	v_fma_f64 v[80:81], v[80:81], v[252:253], -v[136:137]
	v_add_f64 v[78:79], v[78:79], v[12:13]
	v_fmac_f64_e32 v[100:101], s[28:29], v[24:25]
	v_fmac_f64_e32 v[102:103], s[28:29], v[26:27]
	v_add_f64 v[8:9], v[104:105], v[86:87]
	v_add_f64 v[10:11], v[108:109], -v[98:99]
	v_add_f64 v[12:13], v[106:107], -v[90:91]
	v_add_f64 v[14:15], v[30:31], v[96:97]
	v_add_f64 v[24:25], v[90:91], v[106:107]
	v_add_f64 v[26:27], v[96:97], -v[30:31]
	v_add_f64 v[28:29], v[86:87], -v[104:105]
	v_add_f64 v[30:31], v[98:99], v[108:109]
	v_add_f64 v[86:87], v[88:89], v[74:75]
	;; [unrolled: 1-line block ×6, first 2 shown]
	v_add_f64 v[6:7], v[78:79], -v[100:101]
	v_add_f64 v[76:77], v[76:77], -v[102:103]
	v_add_f64 v[78:79], v[100:101], v[78:79]
	v_add_f64 v[74:75], v[88:89], -v[74:75]
	v_add_f64 v[72:73], v[84:85], -v[72:73]
	v_add_f64 v[100:101], v[80:81], v[82:83]
	v_add_f64 v[102:103], v[138:139], v[142:143]
	v_add_f64 v[80:81], v[82:83], -v[80:81]
	v_add_f64 v[104:105], v[96:97], v[86:87]
	v_add_f64 v[106:107], v[98:99], v[90:91]
	v_add_f64 v[108:109], v[96:97], -v[86:87]
	v_add_f64 v[110:111], v[98:99], -v[90:91]
	;; [unrolled: 1-line block ×6, first 2 shown]
	v_add_f64 v[112:113], v[80:81], v[72:73]
	v_add_f64 v[116:117], v[80:81], -v[72:73]
	v_add_f64 v[120:121], v[72:73], -v[74:75]
	v_add_f64 v[100:101], v[100:101], v[104:105]
	v_add_f64 v[102:103], v[102:103], v[106:107]
	v_add_f64 v[84:85], v[134:135], -v[146:147]
	v_add_f64 v[82:83], v[142:143], -v[138:139]
	v_add_f64 v[80:81], v[74:75], -v[80:81]
	v_add_f64 v[104:105], v[112:113], v[74:75]
	v_add_f64 v[72:73], v[92:93], v[100:101]
	;; [unrolled: 1-line block ×3, first 2 shown]
	v_mul_f64 v[86:87], v[86:87], s[14:15]
	v_mul_f64 v[90:91], v[90:91], s[14:15]
	;; [unrolled: 1-line block ×5, first 2 shown]
	v_add_f64 v[88:89], v[130:131], -v[150:151]
	v_add_f64 v[118:119], v[82:83], -v[84:85]
	v_mul_f64 v[94:95], v[98:99], s[10:11]
	v_fma_f64 v[102:103], s[20:21], v[102:103], v[74:75]
	v_fma_f64 v[96:97], s[10:11], v[96:97], v[86:87]
	v_fma_f64 v[92:93], v[108:109], s[22:23], -v[92:93]
	v_fma_f64 v[86:87], v[108:109], s[24:25], -v[86:87]
	;; [unrolled: 1-line block ×3, first 2 shown]
	v_fmac_f64_e32 v[90:91], s[10:11], v[98:99]
	v_fma_f64 v[98:99], s[26:27], v[80:81], v[106:107]
	v_fma_f64 v[80:81], v[80:81], s[30:31], -v[112:113]
	v_add_f64 v[114:115], v[82:83], v[84:85]
	v_add_f64 v[84:85], v[84:85], -v[88:89]
	v_mul_f64 v[122:123], v[118:119], s[18:19]
	v_add_f64 v[118:119], v[108:109], v[102:103]
	v_fmac_f64_e32 v[80:81], s[28:29], v[104:105]
	v_add_f64 v[82:83], v[88:89], -v[82:83]
	v_add_f64 v[88:89], v[114:115], v[88:89]
	v_mul_f64 v[114:115], v[84:85], s[16:17]
	v_fma_f64 v[116:117], v[120:121], s[16:17], -v[106:107]
	v_add_f64 v[106:107], v[118:119], -v[80:81]
	v_add_f64 v[118:119], v[80:81], v[118:119]
	v_mul_u32_u24_e32 v80, 0x16c, v152
	v_fma_f64 v[100:101], s[20:21], v[100:101], v[72:73]
	v_fma_f64 v[94:95], v[110:111], s[22:23], -v[94:95]
	v_fma_f64 v[84:85], v[84:85], s[16:17], -v[122:123]
	v_fmac_f64_e32 v[122:123], s[26:27], v[82:83]
	v_fma_f64 v[82:83], v[82:83], s[30:31], -v[114:115]
	v_add_lshl_u32 v80, v80, v153, 4
	v_accvgpr_write_b32 a14, v160
	v_accvgpr_write_b32 a10, v156
	;; [unrolled: 1-line block ×4, first 2 shown]
	v_add_f64 v[96:97], v[96:97], v[100:101]
	v_add_f64 v[90:91], v[90:91], v[102:103]
	;; [unrolled: 1-line block ×5, first 2 shown]
	v_fmac_f64_e32 v[98:99], s[28:29], v[104:105]
	v_fmac_f64_e32 v[122:123], s[28:29], v[88:89]
	;; [unrolled: 1-line block ×5, first 2 shown]
	ds_write_b128 v80, v[0:3]
	ds_write_b128 v80, v[4:7] offset:832
	ds_write_b128 v80, v[8:11] offset:1664
	;; [unrolled: 1-line block ×5, first 2 shown]
	v_lshlrev_b32_e32 v0, 4, v154
	v_accvgpr_write_b32 a15, v161
	v_accvgpr_write_b32 a16, v162
	;; [unrolled: 1-line block ×12, first 2 shown]
	v_add_f64 v[100:101], v[122:123], v[96:97]
	v_add_f64 v[102:103], v[90:91], -v[98:99]
	v_add_f64 v[104:105], v[82:83], v[86:87]
	v_add_f64 v[108:109], v[92:93], -v[84:85]
	v_add_f64 v[110:111], v[116:117], v[94:95]
	v_add_f64 v[112:113], v[84:85], v[92:93]
	v_add_f64 v[114:115], v[94:95], -v[116:117]
	v_add_f64 v[116:117], v[86:87], -v[82:83]
	;; [unrolled: 1-line block ×3, first 2 shown]
	v_add_f64 v[184:185], v[98:99], v[90:91]
	v_accvgpr_write_b32 a29, v80
	v_accvgpr_write_b32 a28, v0
	ds_write_b128 v80, v[76:79] offset:4992
	s_and_saveexec_b64 s[10:11], s[0:1]
	s_cbranch_execz .LBB0_11
; %bb.10:
	v_accvgpr_read_b32 v0, a28
	ds_write_b128 v0, v[72:75] offset:17472
	ds_write_b128 v0, v[100:103] offset:18304
	;; [unrolled: 1-line block ×7, first 2 shown]
.LBB0_11:
	s_or_b64 exec, exec, s[10:11]
	v_mov_b32_e32 v181, 0
	v_lshl_add_u64 v[0:1], s[2:3], 0, v[180:181]
	s_movk_i32 s17, 0x1000
	v_add_co_u32_e64 v2, s[2:3], s17, v0
	s_movk_i32 s16, 0x2000
	s_nop 0
	v_addc_co_u32_e64 v3, s[2:3], 0, v1, s[2:3]
	s_waitcnt lgkmcnt(0)
	s_barrier
	global_load_dwordx4 v[72:75], v[2:3], off offset:1520
	v_add_co_u32_e64 v2, s[2:3], s16, v0
	s_movk_i32 s19, 0x3000
	s_nop 0
	v_addc_co_u32_e64 v3, s[2:3], 0, v1, s[2:3]
	global_load_dwordx4 v[76:79], v[2:3], off offset:336
	ds_read_b128 v[92:95], v180
	ds_read_b128 v[84:87], v180 offset:2912
	ds_read_b128 v[4:7], v180 offset:11648
	;; [unrolled: 1-line block ×7, first 2 shown]
	v_add_co_u32_e64 v120, s[2:3], s19, v0
	s_movk_i32 s18, 0x4000
	s_nop 0
	v_addc_co_u32_e64 v121, s[2:3], 0, v1, s[2:3]
	v_add_co_u32_e64 v0, s[2:3], s18, v0
	s_waitcnt lgkmcnt(0)
	s_nop 0
	v_addc_co_u32_e64 v1, s[2:3], 0, v1, s[2:3]
	s_barrier
	s_waitcnt vmcnt(1)
	v_mul_f64 v[122:123], v[14:15], v[74:75]
	v_mul_f64 v[124:125], v[12:13], v[74:75]
	;; [unrolled: 1-line block ×4, first 2 shown]
	v_fma_f64 v[12:13], v[12:13], v[72:73], -v[122:123]
	v_fmac_f64_e32 v[124:125], v[14:15], v[72:73]
	s_waitcnt vmcnt(0)
	v_mul_f64 v[80:81], v[10:11], v[78:79]
	v_mul_f64 v[82:83], v[8:9], v[78:79]
	;; [unrolled: 1-line block ×4, first 2 shown]
	v_fma_f64 v[8:9], v[8:9], v[76:77], -v[80:81]
	v_fmac_f64_e32 v[82:83], v[10:11], v[76:77]
	v_fma_f64 v[24:25], v[24:25], v[76:77], -v[126:127]
	v_fmac_f64_e32 v[128:129], v[26:27], v[76:77]
	;; [unrolled: 2-line block ×3, first 2 shown]
	v_add_f64 v[8:9], v[84:85], -v[8:9]
	v_add_f64 v[10:11], v[86:87], -v[82:83]
	;; [unrolled: 1-line block ×8, first 2 shown]
	v_fma_f64 v[80:81], v[84:85], 2.0, -v[8:9]
	v_fma_f64 v[82:83], v[86:87], 2.0, -v[10:11]
	;; [unrolled: 1-line block ×8, first 2 shown]
	ds_write_b128 v180, v[4:7] offset:5824
	ds_write_b128 v180, v[8:11] offset:8736
	;; [unrolled: 1-line block ×4, first 2 shown]
	ds_write_b128 v180, v[28:31]
	ds_write_b128 v180, v[80:83] offset:2912
	ds_write_b128 v180, v[84:87] offset:11648
	;; [unrolled: 1-line block ×3, first 2 shown]
	s_waitcnt lgkmcnt(0)
	s_barrier
	global_load_dwordx4 v[92:95], v[2:3], off offset:3248
	global_load_dwordx4 v[84:87], v[120:121], off offset:2064
	;; [unrolled: 1-line block ×4, first 2 shown]
	ds_read_b128 v[0:3], v180
	ds_read_b128 v[4:7], v180 offset:2912
	ds_read_b128 v[8:11], v180 offset:11648
	;; [unrolled: 1-line block ×7, first 2 shown]
	s_waitcnt vmcnt(3) lgkmcnt(5)
	v_mul_f64 v[124:125], v[10:11], v[94:95]
	v_mul_f64 v[126:127], v[8:9], v[94:95]
	s_waitcnt vmcnt(2) lgkmcnt(4)
	v_mul_f64 v[128:129], v[14:15], v[86:87]
	v_mul_f64 v[130:131], v[12:13], v[86:87]
	;; [unrolled: 3-line block ×4, first 2 shown]
	v_fma_f64 v[8:9], v[8:9], v[92:93], -v[124:125]
	v_fmac_f64_e32 v[126:127], v[10:11], v[92:93]
	v_fma_f64 v[10:11], v[12:13], v[84:85], -v[128:129]
	v_fmac_f64_e32 v[130:131], v[14:15], v[84:85]
	;; [unrolled: 2-line block ×4, first 2 shown]
	v_add_f64 v[120:121], v[0:1], -v[8:9]
	v_add_f64 v[122:123], v[2:3], -v[126:127]
	;; [unrolled: 1-line block ×8, first 2 shown]
	v_fma_f64 v[124:125], v[0:1], 2.0, -v[120:121]
	v_fma_f64 v[126:127], v[2:3], 2.0, -v[122:123]
	;; [unrolled: 1-line block ×8, first 2 shown]
	ds_write_b128 v180, v[120:123] offset:11648
	ds_write_b128 v180, v[128:131] offset:14560
	;; [unrolled: 1-line block ×4, first 2 shown]
	ds_write_b128 v180, v[124:127]
	ds_write_b128 v180, v[132:135] offset:2912
	ds_write_b128 v180, v[140:143] offset:5824
	;; [unrolled: 1-line block ×3, first 2 shown]
	s_waitcnt lgkmcnt(0)
	s_barrier
	s_and_saveexec_b64 s[10:11], vcc
	s_cbranch_execz .LBB0_13
; %bb.12:
	s_add_u32 s14, s8, 0x5b00
	s_addc_u32 s15, s9, 0
	v_lshl_add_u64 v[0:1], s[14:15], 0, v[180:181]
	v_add_co_u32_e64 v2, s[2:3], s17, v0
	global_load_dwordx4 v[152:155], v180, s[14:15]
	global_load_dwordx4 v[156:159], v180, s[14:15] offset:1792
	global_load_dwordx4 v[160:163], v180, s[14:15] offset:3584
	v_addc_co_u32_e64 v3, s[2:3], 0, v1, s[2:3]
	v_add_co_u32_e64 v4, s[2:3], s16, v0
	v_or_b32_e32 v10, 0x3800, v180
	s_nop 0
	v_addc_co_u32_e64 v5, s[2:3], 0, v1, s[2:3]
	v_add_co_u32_e64 v14, s[2:3], s19, v0
	global_load_dwordx4 v[168:171], v[2:3], off offset:1280
	global_load_dwordx4 v[164:167], v[2:3], off offset:3072
	;; [unrolled: 1-line block ×3, first 2 shown]
	s_nop 0
	global_load_dwordx4 v[2:5], v[4:5], off offset:2560
	v_addc_co_u32_e64 v15, s[2:3], 0, v1, s[2:3]
	global_load_dwordx4 v[6:9], v[14:15], off offset:256
	s_nop 0
	global_load_dwordx4 v[10:13], v10, s[14:15]
	s_nop 0
	global_load_dwordx4 v[24:27], v[14:15], off offset:3840
	v_add_co_u32_e64 v14, s[2:3], s18, v0
	v_mov_b64_e32 v[226:227], v[184:185]
	s_nop 0
	v_addc_co_u32_e64 v15, s[2:3], 0, v1, s[2:3]
	global_load_dwordx4 v[28:31], v[14:15], off offset:1536
	s_movk_i32 s2, 0x5000
	v_add_co_u32_e64 v0, s[2:3], s2, v0
	global_load_dwordx4 v[80:83], v[14:15], off offset:3328
	s_nop 0
	v_addc_co_u32_e64 v1, s[2:3], 0, v1, s[2:3]
	global_load_dwordx4 v[176:179], v[0:1], off offset:1024
	v_mov_b64_e32 v[224:225], v[182:183]
	ds_read_b128 v[182:185], v180
	ds_read_b128 v[186:189], v180 offset:1792
	ds_read_b128 v[190:193], v180 offset:3584
	;; [unrolled: 1-line block ×8, first 2 shown]
	s_waitcnt vmcnt(12) lgkmcnt(8)
	v_mul_f64 v[0:1], v[184:185], v[154:155]
	v_mul_f64 v[220:221], v[182:183], v[154:155]
	s_waitcnt vmcnt(11) lgkmcnt(7)
	v_mul_f64 v[154:155], v[186:187], v[158:159]
	v_mul_f64 v[14:15], v[188:189], v[158:159]
	;; [unrolled: 3-line block ×3, first 2 shown]
	v_fma_f64 v[218:219], v[182:183], v[152:153], -v[0:1]
	v_fmac_f64_e32 v[220:221], v[184:185], v[152:153]
	v_fmac_f64_e32 v[154:155], v[188:189], v[156:157]
	v_fma_f64 v[152:153], v[186:187], v[156:157], -v[14:15]
	v_fma_f64 v[156:157], v[190:191], v[160:161], -v[222:223]
	v_fmac_f64_e32 v[158:159], v[192:193], v[160:161]
	ds_write_b128 v180, v[218:221]
	ds_write_b128 v180, v[152:155] offset:1792
	ds_write_b128 v180, v[156:159] offset:3584
	s_waitcnt vmcnt(9) lgkmcnt(8)
	v_mul_f64 v[0:1], v[196:197], v[170:171]
	v_mul_f64 v[154:155], v[194:195], v[170:171]
	s_waitcnt vmcnt(8) lgkmcnt(7)
	v_mul_f64 v[14:15], v[200:201], v[166:167]
	v_mul_f64 v[158:159], v[198:199], v[166:167]
	v_fma_f64 v[152:153], v[194:195], v[168:169], -v[0:1]
	v_fmac_f64_e32 v[154:155], v[196:197], v[168:169]
	s_waitcnt vmcnt(7) lgkmcnt(6)
	v_mul_f64 v[160:161], v[204:205], v[174:175]
	v_mul_f64 v[162:163], v[202:203], v[174:175]
	s_waitcnt vmcnt(6) lgkmcnt(5)
	v_mul_f64 v[170:171], v[208:209], v[4:5]
	v_mul_f64 v[166:167], v[206:207], v[4:5]
	;; [unrolled: 3-line block ×3, first 2 shown]
	v_fma_f64 v[156:157], v[198:199], v[164:165], -v[14:15]
	v_fmac_f64_e32 v[158:159], v[200:201], v[164:165]
	ds_write_b128 v180, v[152:155] offset:5376
	ds_write_b128 v180, v[156:159] offset:7168
	v_fma_f64 v[164:165], v[206:207], v[2:3], -v[170:171]
	v_fmac_f64_e32 v[166:167], v[208:209], v[2:3]
	v_fma_f64 v[2:3], v[210:211], v[6:7], -v[174:175]
	v_fmac_f64_e32 v[4:5], v[212:213], v[6:7]
	ds_read_b128 v[6:9], v180 offset:14336
	v_fma_f64 v[160:161], v[202:203], v[172:173], -v[160:161]
	v_fmac_f64_e32 v[162:163], v[204:205], v[172:173]
	ds_write_b128 v180, v[160:163] offset:8960
	ds_write_b128 v180, v[164:167] offset:10752
	;; [unrolled: 1-line block ×3, first 2 shown]
	ds_read_b128 v[0:3], v180 offset:16128
	s_waitcnt vmcnt(4) lgkmcnt(4)
	v_mul_f64 v[4:5], v[8:9], v[12:13]
	v_fma_f64 v[4:5], v[6:7], v[10:11], -v[4:5]
	v_mul_f64 v[6:7], v[6:7], v[12:13]
	v_fmac_f64_e32 v[6:7], v[8:9], v[10:11]
	ds_read_b128 v[8:11], v180 offset:17920
	ds_write_b128 v180, v[4:7] offset:14336
	s_waitcnt vmcnt(3) lgkmcnt(2)
	v_mul_f64 v[4:5], v[2:3], v[26:27]
	v_mul_f64 v[6:7], v[0:1], v[26:27]
	v_fma_f64 v[4:5], v[0:1], v[24:25], -v[4:5]
	v_fmac_f64_e32 v[6:7], v[2:3], v[24:25]
	ds_read_b128 v[0:3], v180 offset:19712
	ds_write_b128 v180, v[4:7] offset:16128
	s_waitcnt vmcnt(2) lgkmcnt(3)
	v_mul_f64 v[4:5], v[10:11], v[30:31]
	v_mul_f64 v[6:7], v[8:9], v[30:31]
	v_fma_f64 v[4:5], v[8:9], v[28:29], -v[4:5]
	v_fmac_f64_e32 v[6:7], v[10:11], v[28:29]
	ds_write_b128 v180, v[4:7] offset:17920
	s_waitcnt vmcnt(1) lgkmcnt(2)
	v_mul_f64 v[4:5], v[2:3], v[82:83]
	v_mul_f64 v[6:7], v[0:1], v[82:83]
	v_mov_b64_e32 v[182:183], v[224:225]
	v_fma_f64 v[4:5], v[0:1], v[80:81], -v[4:5]
	v_fmac_f64_e32 v[6:7], v[2:3], v[80:81]
	s_waitcnt vmcnt(0)
	v_mul_f64 v[0:1], v[216:217], v[178:179]
	v_mul_f64 v[2:3], v[214:215], v[178:179]
	v_mov_b64_e32 v[184:185], v[226:227]
	v_fma_f64 v[0:1], v[214:215], v[176:177], -v[0:1]
	v_fmac_f64_e32 v[2:3], v[216:217], v[176:177]
	ds_write_b128 v180, v[4:7] offset:19712
	ds_write_b128 v180, v[0:3] offset:21504
.LBB0_13:
	s_or_b64 exec, exec, s[10:11]
	s_waitcnt lgkmcnt(0)
	s_barrier
	s_and_saveexec_b64 s[2:3], vcc
	s_cbranch_execz .LBB0_15
; %bb.14:
	ds_read_b128 v[124:127], v180
	ds_read_b128 v[120:123], v180 offset:1792
	ds_read_b128 v[132:135], v180 offset:3584
	;; [unrolled: 1-line block ×12, first 2 shown]
.LBB0_15:
	s_or_b64 exec, exec, s[2:3]
	s_mov_b32 s42, 0x4267c47c
	s_mov_b32 s18, 0xd0032e0c
	s_waitcnt lgkmcnt(0)
	v_add_f64 v[200:201], v[118:119], v[122:123]
	v_add_f64 v[10:11], v[122:123], -v[118:119]
	s_mov_b32 s2, 0xe00740e9
	s_mov_b32 s43, 0xbfddbe06
	;; [unrolled: 1-line block ×5, first 2 shown]
	v_add_f64 v[178:179], v[120:121], -v[116:117]
	s_mov_b32 s3, 0x3fec55a7
	v_mul_f64 v[0:1], v[10:11], s[42:43]
	s_mov_b32 s15, 0xbfea55e2
	s_mov_b32 s21, 0xbfe5384d
	v_mul_f64 v[196:197], v[200:201], s[18:19]
	v_add_f64 v[172:173], v[134:135], -v[114:115]
	v_add_f64 v[176:177], v[116:117], v[120:121]
	v_mul_f64 v[2:3], v[200:201], s[2:3]
	v_accvgpr_write_b32 a35, v1
	s_mov_b32 s10, 0x1ea71119
	v_fma_f64 v[28:29], s[20:21], v[178:179], v[196:197]
	v_mul_f64 v[80:81], v[172:173], s[14:15]
	v_accvgpr_write_b32 a34, v0
	v_fma_f64 v[0:1], v[176:177], s[2:3], -v[0:1]
	v_accvgpr_write_b32 a37, v3
	s_mov_b32 s11, 0x3fe22d96
	v_add_f64 v[30:31], v[126:127], v[28:29]
	v_add_f64 v[194:195], v[112:113], v[132:133]
	;; [unrolled: 1-line block ×3, first 2 shown]
	v_accvgpr_write_b32 a42, v80
	v_add_f64 v[0:1], v[124:125], v[0:1]
	v_accvgpr_write_b32 a36, v2
	v_fma_f64 v[2:3], s[42:43], v[178:179], v[2:3]
	s_mov_b32 s30, 0x2ef20147
	v_add_f64 v[198:199], v[132:133], -v[112:113]
	v_mul_f64 v[82:83], v[28:29], s[10:11]
	v_accvgpr_write_b32 a43, v81
	v_fma_f64 v[80:81], v[194:195], s[10:11], -v[80:81]
	v_add_f64 v[2:3], v[126:127], v[2:3]
	v_mul_f64 v[4:5], v[10:11], s[14:15]
	s_mov_b32 s31, 0xbfedeba7
	v_add_f64 v[0:1], v[80:81], v[0:1]
	v_fma_f64 v[80:81], s[14:15], v[198:199], v[82:83]
	v_mul_f64 v[6:7], v[200:201], s[10:11]
	v_accvgpr_write_b32 a39, v5
	s_mov_b32 s34, 0xb2365da1
	v_add_f64 v[2:3], v[80:81], v[2:3]
	v_mul_f64 v[80:81], v[172:173], s[30:31]
	v_accvgpr_write_b32 a38, v4
	v_fma_f64 v[4:5], v[176:177], s[10:11], -v[4:5]
	v_accvgpr_write_b32 a41, v7
	s_mov_b32 s24, 0x66966769
	s_mov_b32 s35, 0xbfd6b1d8
	v_accvgpr_write_b32 a46, v82
	v_accvgpr_write_b32 a50, v80
	v_add_f64 v[4:5], v[124:125], v[4:5]
	v_accvgpr_write_b32 a40, v6
	v_fma_f64 v[6:7], s[14:15], v[178:179], v[6:7]
	s_mov_b32 s22, 0xebaa3ed8
	s_mov_b32 s25, 0xbfefc445
	v_accvgpr_write_b32 a47, v83
	v_mul_f64 v[82:83], v[28:29], s[34:35]
	v_accvgpr_write_b32 a51, v81
	v_fma_f64 v[80:81], v[194:195], s[34:35], -v[80:81]
	s_mov_b32 s26, 0x4bc48dbf
	v_add_f64 v[6:7], v[126:127], v[6:7]
	s_mov_b32 s23, 0x3fbedb7d
	v_mul_f64 v[8:9], v[10:11], s[24:25]
	v_add_f64 v[4:5], v[80:81], v[4:5]
	v_fma_f64 v[80:81], s[30:31], v[198:199], v[82:83]
	s_mov_b32 s27, 0xbfcea1e5
	v_mul_f64 v[12:13], v[200:201], s[22:23]
	v_accvgpr_write_b32 a45, v9
	v_add_f64 v[6:7], v[80:81], v[6:7]
	s_mov_b32 s28, 0x93053d00
	v_mul_f64 v[80:81], v[172:173], s[26:27]
	v_accvgpr_write_b32 a44, v8
	v_fma_f64 v[8:9], v[176:177], s[22:23], -v[8:9]
	v_accvgpr_write_b32 a49, v13
	v_accvgpr_write_b32 a52, v82
	s_mov_b32 s29, 0xbfef11f4
	v_accvgpr_write_b32 a60, v80
	v_add_f64 v[8:9], v[124:125], v[8:9]
	v_accvgpr_write_b32 a48, v12
	v_fma_f64 v[12:13], s[24:25], v[178:179], v[12:13]
	v_accvgpr_write_b32 a53, v83
	v_mul_f64 v[82:83], v[28:29], s[28:29]
	v_accvgpr_write_b32 a61, v81
	v_fma_f64 v[80:81], v[194:195], s[28:29], -v[80:81]
	v_add_f64 v[12:13], v[126:127], v[12:13]
	v_mul_f64 v[14:15], v[10:11], s[30:31]
	v_add_f64 v[8:9], v[80:81], v[8:9]
	v_fma_f64 v[80:81], s[26:27], v[198:199], v[82:83]
	s_mov_b32 s40, s20
	v_mul_f64 v[24:25], v[200:201], s[34:35]
	v_accvgpr_write_b32 a57, v15
	v_add_f64 v[12:13], v[80:81], v[12:13]
	v_mul_f64 v[80:81], v[172:173], s[40:41]
	v_accvgpr_write_b32 a56, v14
	v_fma_f64 v[14:15], v[176:177], s[34:35], -v[14:15]
	v_accvgpr_write_b32 a73, v25
	v_mul_f64 v[26:27], v[10:11], s[20:21]
	v_accvgpr_write_b32 a66, v82
	v_accvgpr_write_b32 a74, v80
	v_add_f64 v[14:15], v[124:125], v[14:15]
	v_accvgpr_write_b32 a72, v24
	v_fma_f64 v[24:25], s[30:31], v[178:179], v[24:25]
	v_accvgpr_write_b32 a105, v27
	v_accvgpr_write_b32 a67, v83
	v_mul_f64 v[82:83], v[28:29], s[18:19]
	v_accvgpr_write_b32 a75, v81
	v_fma_f64 v[80:81], v[194:195], s[18:19], -v[80:81]
	s_mov_b32 s37, 0x3fefc445
	s_mov_b32 s36, s24
	v_add_f64 v[24:25], v[126:127], v[24:25]
	v_accvgpr_write_b32 a104, v26
	v_fma_f64 v[26:27], v[176:177], s[18:19], -v[26:27]
	v_add_f64 v[80:81], v[80:81], v[14:15]
	v_accvgpr_write_b32 a97, v83
	v_fma_f64 v[14:15], s[40:41], v[198:199], v[82:83]
	v_mul_f64 v[208:209], v[172:173], s[36:37]
	v_add_f64 v[26:27], v[124:125], v[26:27]
	v_accvgpr_write_b32 a96, v82
	v_add_f64 v[24:25], v[14:15], v[24:25]
	v_mul_f64 v[14:15], v[28:29], s[22:23]
	v_fma_f64 v[82:83], v[194:195], s[22:23], -v[208:209]
	v_add_f64 v[26:27], v[82:83], v[26:27]
	v_fma_f64 v[82:83], s[36:37], v[198:199], v[14:15]
	v_add_f64 v[174:175], v[130:131], -v[110:111]
	v_add_f64 v[82:83], v[82:83], v[30:31]
	v_mul_f64 v[30:31], v[174:175], s[24:25]
	v_add_f64 v[202:203], v[128:129], v[108:109]
	v_add_f64 v[222:223], v[130:131], v[110:111]
	v_accvgpr_write_b32 a55, v31
	v_add_f64 v[206:207], v[128:129], -v[108:109]
	v_mul_f64 v[152:153], v[222:223], s[22:23]
	v_accvgpr_write_b32 a54, v30
	v_fma_f64 v[30:31], v[202:203], s[22:23], -v[30:31]
	v_add_f64 v[0:1], v[30:31], v[0:1]
	v_fma_f64 v[30:31], s[24:25], v[206:207], v[152:153]
	v_add_f64 v[2:3], v[30:31], v[2:3]
	v_mul_f64 v[30:31], v[174:175], s[26:27]
	v_accvgpr_write_b32 a58, v152
	v_accvgpr_write_b32 a63, v31
	;; [unrolled: 1-line block ×3, first 2 shown]
	v_mul_f64 v[152:153], v[222:223], s[28:29]
	v_accvgpr_write_b32 a62, v30
	v_fma_f64 v[30:31], v[202:203], s[28:29], -v[30:31]
	v_add_f64 v[4:5], v[30:31], v[4:5]
	v_fma_f64 v[30:31], s[26:27], v[206:207], v[152:153]
	s_mov_b32 s45, 0x3fedeba7
	s_mov_b32 s44, s30
	v_add_f64 v[6:7], v[30:31], v[6:7]
	v_mul_f64 v[30:31], v[174:175], s[44:45]
	v_accvgpr_write_b32 a68, v152
	v_accvgpr_write_b32 a77, v31
	v_accvgpr_write_b32 a69, v153
	v_mul_f64 v[152:153], v[222:223], s[34:35]
	v_accvgpr_write_b32 a76, v30
	v_fma_f64 v[30:31], v[202:203], s[34:35], -v[30:31]
	v_add_f64 v[8:9], v[30:31], v[8:9]
	v_fma_f64 v[30:31], s[44:45], v[206:207], v[152:153]
	s_mov_b32 s39, 0x3fddbe06
	s_mov_b32 s38, s42
	v_add_f64 v[12:13], v[30:31], v[12:13]
	v_mul_f64 v[30:31], v[174:175], s[38:39]
	v_accvgpr_write_b32 a93, v31
	v_accvgpr_write_b32 a82, v152
	v_mul_f64 v[192:193], v[222:223], s[2:3]
	v_accvgpr_write_b32 a92, v30
	v_fma_f64 v[30:31], v[202:203], s[2:3], -v[30:31]
	v_accvgpr_write_b32 a83, v153
	v_add_f64 v[152:153], v[30:31], v[80:81]
	v_fma_f64 v[30:31], s[38:39], v[206:207], v[192:193]
	v_mul_f64 v[212:213], v[174:175], s[14:15]
	v_add_f64 v[24:25], v[30:31], v[24:25]
	v_mul_f64 v[30:31], v[222:223], s[10:11]
	v_fma_f64 v[80:81], v[202:203], s[10:11], -v[212:213]
	v_add_f64 v[230:231], v[142:143], -v[106:107]
	v_add_f64 v[26:27], v[80:81], v[26:27]
	v_fma_f64 v[80:81], s[14:15], v[206:207], v[30:31]
	v_mul_f64 v[156:157], v[230:231], s[30:31]
	v_add_f64 v[154:155], v[80:81], v[82:83]
	v_add_f64 v[80:81], v[140:141], v[104:105]
	;; [unrolled: 1-line block ×3, first 2 shown]
	v_accvgpr_write_b32 a64, v156
	v_add_f64 v[82:83], v[140:141], -v[104:105]
	v_mul_f64 v[158:159], v[228:229], s[34:35]
	v_accvgpr_write_b32 a65, v157
	v_fma_f64 v[156:157], v[80:81], s[34:35], -v[156:157]
	v_add_f64 v[156:157], v[156:157], v[0:1]
	v_fma_f64 v[0:1], s[30:31], v[82:83], v[158:159]
	v_add_f64 v[2:3], v[0:1], v[2:3]
	v_mul_f64 v[0:1], v[230:231], s[40:41]
	v_accvgpr_write_b32 a79, v1
	v_accvgpr_write_b32 a70, v158
	v_mul_f64 v[160:161], v[228:229], s[18:19]
	v_accvgpr_write_b32 a78, v0
	v_fma_f64 v[0:1], v[80:81], s[18:19], -v[0:1]
	v_accvgpr_write_b32 a71, v159
	v_add_f64 v[158:159], v[0:1], v[4:5]
	v_fma_f64 v[0:1], s[40:41], v[82:83], v[160:161]
	v_add_f64 v[6:7], v[0:1], v[6:7]
	v_mul_f64 v[0:1], v[230:231], s[38:39]
	v_accvgpr_write_b32 a89, v1
	v_mul_f64 v[4:5], v[228:229], s[2:3]
	v_accvgpr_write_b32 a88, v0
	v_fma_f64 v[0:1], v[80:81], s[2:3], -v[0:1]
	v_accvgpr_write_b32 a84, v160
	v_add_f64 v[8:9], v[0:1], v[8:9]
	v_fma_f64 v[0:1], s[38:39], v[82:83], v[4:5]
	v_mul_f64 v[186:187], v[230:231], s[24:25]
	v_accvgpr_write_b32 a85, v161
	v_add_f64 v[160:161], v[0:1], v[12:13]
	v_mul_f64 v[12:13], v[228:229], s[22:23]
	v_fma_f64 v[0:1], v[80:81], s[22:23], -v[186:187]
	s_mov_b32 s46, s26
	v_add_f64 v[152:153], v[0:1], v[152:153]
	v_fma_f64 v[0:1], s[24:25], v[82:83], v[12:13]
	v_mul_f64 v[214:215], v[230:231], s[46:47]
	v_add_f64 v[24:25], v[0:1], v[24:25]
	v_mul_f64 v[220:221], v[228:229], s[28:29]
	v_fma_f64 v[0:1], v[80:81], s[28:29], -v[214:215]
	v_add_f64 v[236:237], v[138:139], -v[102:103]
	v_add_f64 v[162:163], v[0:1], v[26:27]
	v_fma_f64 v[0:1], s[46:47], v[82:83], v[220:221]
	v_mul_f64 v[26:27], v[236:237], s[20:21]
	v_accvgpr_write_b32 a99, v5
	v_add_f64 v[154:155], v[0:1], v[154:155]
	v_add_f64 v[0:1], v[100:101], v[136:137]
	;; [unrolled: 1-line block ×3, first 2 shown]
	v_accvgpr_write_b32 a81, v27
	v_accvgpr_write_b32 a98, v4
	v_add_f64 v[4:5], v[136:137], -v[100:101]
	v_mul_f64 v[164:165], v[234:235], s[18:19]
	v_accvgpr_write_b32 a80, v26
	v_fma_f64 v[26:27], v[0:1], s[18:19], -v[26:27]
	v_add_f64 v[156:157], v[26:27], v[156:157]
	v_fma_f64 v[26:27], s[20:21], v[4:5], v[164:165]
	v_add_f64 v[2:3], v[26:27], v[2:3]
	v_mul_f64 v[26:27], v[236:237], s[36:37]
	v_accvgpr_write_b32 a86, v164
	v_accvgpr_write_b32 a91, v27
	;; [unrolled: 1-line block ×3, first 2 shown]
	v_mul_f64 v[164:165], v[234:235], s[22:23]
	v_accvgpr_write_b32 a90, v26
	v_fma_f64 v[26:27], v[0:1], s[22:23], -v[26:27]
	v_add_f64 v[158:159], v[26:27], v[158:159]
	v_fma_f64 v[26:27], s[36:37], v[4:5], v[164:165]
	v_add_f64 v[166:167], v[26:27], v[6:7]
	v_mul_f64 v[6:7], v[236:237], s[14:15]
	v_accvgpr_write_b32 a107, v7
	v_mul_f64 v[188:189], v[234:235], s[10:11]
	v_accvgpr_write_b32 a106, v6
	v_fma_f64 v[6:7], v[0:1], s[10:11], -v[6:7]
	v_add_f64 v[216:217], v[6:7], v[8:9]
	v_fma_f64 v[6:7], s[14:15], v[4:5], v[188:189]
	v_add_f64 v[160:161], v[6:7], v[160:161]
	v_mul_f64 v[6:7], v[236:237], s[46:47]
	v_mul_f64 v[26:27], v[234:235], s[28:29]
	v_fma_f64 v[8:9], v[0:1], s[28:29], -v[6:7]
	v_add_f64 v[226:227], v[8:9], v[152:153]
	v_fma_f64 v[8:9], s[46:47], v[4:5], v[26:27]
	v_mul_f64 v[218:219], v[236:237], s[38:39]
	v_add_f64 v[240:241], v[150:151], -v[146:147]
	v_add_f64 v[232:233], v[8:9], v[24:25]
	v_mul_f64 v[224:225], v[234:235], s[2:3]
	v_fma_f64 v[8:9], v[0:1], s[2:3], -v[218:219]
	v_mul_f64 v[24:25], v[240:241], s[26:27]
	v_add_f64 v[162:163], v[8:9], v[162:163]
	v_fma_f64 v[8:9], s[38:39], v[4:5], v[224:225]
	v_add_f64 v[210:211], v[144:145], v[148:149]
	v_add_f64 v[238:239], v[146:147], v[150:151]
	v_accvgpr_write_b32 a95, v25
	v_add_f64 v[244:245], v[8:9], v[154:155]
	v_add_f64 v[8:9], v[148:149], -v[144:145]
	v_mul_f64 v[152:153], v[238:239], s[28:29]
	v_accvgpr_write_b32 a94, v24
	v_fma_f64 v[24:25], v[210:211], s[28:29], -v[24:25]
	v_add_f64 v[168:169], v[24:25], v[156:157]
	v_fma_f64 v[24:25], s[26:27], v[8:9], v[152:153]
	v_add_f64 v[170:171], v[24:25], v[2:3]
	v_mul_f64 v[2:3], v[240:241], s[38:39]
	v_accvgpr_write_b32 a109, v3
	v_accvgpr_write_b32 a100, v164
	v_mul_f64 v[190:191], v[238:239], s[2:3]
	v_accvgpr_write_b32 a108, v2
	v_fma_f64 v[2:3], v[210:211], s[2:3], -v[2:3]
	v_accvgpr_write_b32 a101, v165
	v_add_f64 v[164:165], v[2:3], v[158:159]
	v_fma_f64 v[2:3], s[38:39], v[8:9], v[190:191]
	v_mul_f64 v[204:205], v[240:241], s[20:21]
	v_accvgpr_write_b32 a102, v152
	v_add_f64 v[166:167], v[2:3], v[166:167]
	v_mul_f64 v[2:3], v[238:239], s[18:19]
	v_fma_f64 v[24:25], v[210:211], s[18:19], -v[204:205]
	v_accvgpr_write_b32 a103, v153
	v_add_f64 v[152:153], v[24:25], v[216:217]
	v_fma_f64 v[24:25], s[20:21], v[8:9], v[2:3]
	s_mov_b32 s49, 0x3fea55e2
	s_mov_b32 s48, s14
	v_add_f64 v[154:155], v[24:25], v[160:161]
	v_mul_f64 v[24:25], v[240:241], s[48:49]
	v_mul_f64 v[216:217], v[238:239], s[10:11]
	v_fma_f64 v[156:157], v[210:211], s[10:11], -v[24:25]
	v_add_f64 v[156:157], v[156:157], v[226:227]
	v_fma_f64 v[158:159], s[48:49], v[8:9], v[216:217]
	v_mul_f64 v[226:227], v[240:241], s[30:31]
	v_add_f64 v[158:159], v[158:159], v[232:233]
	v_mul_f64 v[232:233], v[238:239], s[34:35]
	v_fma_f64 v[160:161], v[210:211], s[34:35], -v[226:227]
	v_add_f64 v[160:161], v[160:161], v[162:163]
	v_fma_f64 v[162:163], s[30:31], v[8:9], v[232:233]
	v_add_f64 v[162:163], v[162:163], v[244:245]
	s_barrier
	s_and_saveexec_b64 s[16:17], vcc
	s_cbranch_execz .LBB0_17
; %bb.16:
	v_accvgpr_write_b32 a2, v248
	v_accvgpr_write_b32 a3, v249
	;; [unrolled: 1-line block ×4, first 2 shown]
	v_mul_f64 v[250:251], v[178:179], s[26:27]
	v_accvgpr_write_b32 a6, v252
	v_accvgpr_write_b32 a0, v246
	v_mov_b32_e32 v181, v247
	v_mul_f64 v[246:247], v[198:199], s[38:39]
	v_accvgpr_write_b32 a7, v253
	v_accvgpr_write_b32 a8, v254
	;; [unrolled: 1-line block ×3, first 2 shown]
	v_fma_f64 v[252:253], s[28:29], v[200:201], v[250:251]
	v_mul_f64 v[244:245], v[206:207], s[20:21]
	v_fma_f64 v[248:249], s[2:3], v[28:29], v[246:247]
	v_add_f64 v[252:253], v[126:127], v[252:253]
	v_add_f64 v[248:249], v[248:249], v[252:253]
	v_fma_f64 v[252:253], s[18:19], v[222:223], v[244:245]
	v_add_f64 v[248:249], v[252:253], v[248:249]
	v_mul_f64 v[252:253], v[82:83], s[48:49]
	v_fma_f64 v[254:255], s[10:11], v[228:229], v[252:253]
	v_add_f64 v[248:249], v[254:255], v[248:249]
	v_mul_f64 v[254:255], v[4:5], s[30:31]
	v_accvgpr_write_b32 a26, v242
	v_accvgpr_write_b32 a27, v243
	v_fma_f64 v[242:243], s[34:35], v[234:235], v[254:255]
	v_mul_f64 v[10:11], v[10:11], s[26:27]
	v_add_f64 v[242:243], v[242:243], v[248:249]
	v_mul_f64 v[248:249], v[172:173], s[38:39]
	v_fma_f64 v[172:173], v[176:177], s[28:29], -v[10:11]
	v_accvgpr_write_b32 a30, v182
	v_add_f64 v[172:173], v[124:125], v[172:173]
	v_accvgpr_write_b32 a31, v183
	v_accvgpr_write_b32 a32, v184
	;; [unrolled: 1-line block ×3, first 2 shown]
	v_fma_f64 v[182:183], v[194:195], s[2:3], -v[248:249]
	v_add_f64 v[172:173], v[182:183], v[172:173]
	v_mul_f64 v[182:183], v[174:175], s[20:21]
	v_fma_f64 v[174:175], v[202:203], s[18:19], -v[182:183]
	v_mul_f64 v[230:231], v[230:231], s[48:49]
	v_add_f64 v[172:173], v[174:175], v[172:173]
	v_fma_f64 v[174:175], v[80:81], s[10:11], -v[230:231]
	v_mul_f64 v[236:237], v[236:237], s[30:31]
	v_add_f64 v[172:173], v[174:175], v[172:173]
	;; [unrolled: 3-line block ×3, first 2 shown]
	v_fma_f64 v[174:175], s[22:23], v[238:239], v[184:185]
	v_mul_f64 v[240:241], v[240:241], s[36:37]
	v_add_f64 v[174:175], v[174:175], v[242:243]
	v_fma_f64 v[242:243], v[210:211], s[22:23], -v[240:241]
	v_fma_f64 v[184:185], v[238:239], s[22:23], -v[184:185]
	;; [unrolled: 1-line block ×3, first 2 shown]
	v_mul_f64 v[222:223], v[176:177], s[2:3]
	v_add_f64 v[172:173], v[242:243], v[172:173]
	v_accvgpr_write_b32 a110, v222
	v_fma_f64 v[242:243], v[200:201], s[28:29], -v[250:251]
	v_accvgpr_write_b32 a111, v223
	v_fma_f64 v[222:223], v[28:29], s[2:3], -v[246:247]
	v_add_f64 v[242:243], v[126:127], v[242:243]
	v_add_f64 v[242:243], v[222:223], v[242:243]
	v_fma_f64 v[228:229], v[228:229], s[10:11], -v[252:253]
	v_add_f64 v[238:239], v[238:239], v[242:243]
	v_fma_f64 v[234:235], v[234:235], s[34:35], -v[254:255]
	v_add_f64 v[228:229], v[228:229], v[238:239]
	v_fmac_f64_e32 v[10:11], s[28:29], v[176:177]
	v_add_f64 v[228:229], v[234:235], v[228:229]
	v_fmac_f64_e32 v[248:249], s[2:3], v[194:195]
	v_add_f64 v[10:11], v[124:125], v[10:11]
	v_mul_f64 v[28:29], v[178:179], s[42:43]
	v_mul_f64 v[222:223], v[178:179], s[14:15]
	;; [unrolled: 1-line block ×3, first 2 shown]
	v_add_f64 v[10:11], v[248:249], v[10:11]
	v_mul_f64 v[244:245], v[178:179], s[30:31]
	v_mul_f64 v[248:249], v[178:179], s[20:21]
	v_add_f64 v[178:179], v[184:185], v[228:229]
	v_mul_f64 v[228:229], v[8:9], s[30:31]
	v_add_f64 v[228:229], v[232:233], -v[228:229]
	v_mul_f64 v[232:233], v[4:5], s[38:39]
	v_add_f64 v[224:225], v[224:225], -v[232:233]
	;; [unrolled: 2-line block ×5, first 2 shown]
	v_add_f64 v[14:15], v[14:15], -v[232:233]
	v_add_f64 v[196:197], v[126:127], v[196:197]
	v_add_f64 v[14:15], v[14:15], v[196:197]
	v_fmac_f64_e32 v[182:183], s[18:19], v[202:203]
	v_add_f64 v[14:15], v[30:31], v[14:15]
	v_mul_f64 v[200:201], v[176:177], s[10:11]
	v_mul_f64 v[242:243], v[176:177], s[22:23]
	;; [unrolled: 1-line block ×4, first 2 shown]
	v_add_f64 v[176:177], v[182:183], v[10:11]
	v_fmac_f64_e32 v[230:231], s[10:11], v[80:81]
	v_add_f64 v[14:15], v[220:221], v[14:15]
	v_mul_f64 v[196:197], v[210:211], s[34:35]
	v_add_f64 v[176:177], v[230:231], v[176:177]
	v_fmac_f64_e32 v[236:237], s[34:35], v[0:1]
	v_add_f64 v[14:15], v[224:225], v[14:15]
	v_add_f64 v[224:225], v[196:197], v[226:227]
	v_accvgpr_read_b32 v227, a105
	v_add_f64 v[176:177], v[236:237], v[176:177]
	v_fmac_f64_e32 v[240:241], s[22:23], v[210:211]
	v_mul_f64 v[196:197], v[0:1], s[2:3]
	v_accvgpr_read_b32 v226, a104
	v_mul_f64 v[10:11], v[194:195], s[10:11]
	v_mul_f64 v[230:231], v[194:195], s[34:35]
	v_add_f64 v[176:177], v[240:241], v[176:177]
	v_mul_f64 v[232:233], v[194:195], s[28:29]
	v_mul_f64 v[240:241], v[194:195], s[18:19]
	;; [unrolled: 1-line block ×3, first 2 shown]
	v_add_f64 v[196:197], v[196:197], v[218:219]
	v_mul_f64 v[218:219], v[80:81], s[28:29]
	v_add_f64 v[226:227], v[246:247], v[226:227]
	v_add_f64 v[214:215], v[218:219], v[214:215]
	v_mul_f64 v[218:219], v[202:203], s[10:11]
	v_add_f64 v[194:195], v[194:195], v[208:209]
	v_add_f64 v[226:227], v[124:125], v[226:227]
	;; [unrolled: 1-line block ×6, first 2 shown]
	v_accvgpr_read_b32 v251, a73
	v_add_f64 v[194:195], v[196:197], v[194:195]
	v_add_f64 v[196:197], v[228:229], v[14:15]
	v_accvgpr_read_b32 v229, a97
	v_accvgpr_read_b32 v250, a72
	v_mul_f64 v[182:183], v[198:199], s[14:15]
	v_mul_f64 v[184:185], v[198:199], s[30:31]
	;; [unrolled: 1-line block ×4, first 2 shown]
	v_add_f64 v[194:195], v[224:225], v[194:195]
	v_mul_f64 v[224:225], v[8:9], s[48:49]
	v_accvgpr_read_b32 v228, a96
	v_add_f64 v[244:245], v[250:251], -v[244:245]
	v_mul_f64 v[220:221], v[206:207], s[24:25]
	v_mul_f64 v[208:209], v[206:207], s[26:27]
	;; [unrolled: 1-line block ×4, first 2 shown]
	v_add_f64 v[216:217], v[216:217], -v[224:225]
	v_mul_f64 v[224:225], v[4:5], s[46:47]
	v_add_f64 v[198:199], v[228:229], -v[198:199]
	v_add_f64 v[244:245], v[126:127], v[244:245]
	v_add_f64 v[26:27], v[26:27], -v[224:225]
	v_mul_f64 v[224:225], v[82:83], s[24:25]
	v_add_f64 v[192:193], v[192:193], -v[206:207]
	v_add_f64 v[198:199], v[198:199], v[244:245]
	v_add_f64 v[12:13], v[12:13], -v[224:225]
	v_add_f64 v[192:193], v[192:193], v[198:199]
	v_mul_f64 v[228:229], v[4:5], s[20:21]
	v_mul_f64 v[244:245], v[4:5], s[36:37]
	;; [unrolled: 1-line block ×3, first 2 shown]
	v_add_f64 v[4:5], v[12:13], v[192:193]
	v_mul_f64 v[206:207], v[0:1], s[18:19]
	v_mul_f64 v[250:251], v[0:1], s[22:23]
	;; [unrolled: 1-line block ×4, first 2 shown]
	v_add_f64 v[4:5], v[26:27], v[4:5]
	v_add_f64 v[0:1], v[0:1], v[6:7]
	;; [unrolled: 1-line block ×3, first 2 shown]
	v_accvgpr_read_b32 v4, a92
	v_mul_f64 v[30:31], v[202:203], s[22:23]
	v_mul_f64 v[218:219], v[202:203], s[28:29]
	;; [unrolled: 1-line block ×4, first 2 shown]
	v_accvgpr_read_b32 v5, a93
	v_accvgpr_read_b32 v217, a57
	v_add_f64 v[4:5], v[202:203], v[4:5]
	v_accvgpr_read_b32 v203, a75
	v_accvgpr_read_b32 v216, a56
	;; [unrolled: 1-line block ×3, first 2 shown]
	v_add_f64 v[216:217], v[234:235], v[216:217]
	v_add_f64 v[202:203], v[240:241], v[202:203]
	;; [unrolled: 1-line block ×3, first 2 shown]
	v_mul_f64 v[212:213], v[80:81], s[34:35]
	v_mul_f64 v[248:249], v[80:81], s[18:19]
	;; [unrolled: 1-line block ×4, first 2 shown]
	v_add_f64 v[202:203], v[202:203], v[216:217]
	v_add_f64 v[80:81], v[80:81], v[186:187]
	v_add_f64 v[4:5], v[4:5], v[202:203]
	v_mul_f64 v[12:13], v[210:211], s[10:11]
	v_add_f64 v[4:5], v[80:81], v[4:5]
	v_add_f64 v[12:13], v[12:13], v[24:25]
	v_mul_f64 v[24:25], v[8:9], s[26:27]
	v_mul_f64 v[186:187], v[8:9], s[38:39]
	;; [unrolled: 1-line block ×3, first 2 shown]
	v_add_f64 v[0:1], v[0:1], v[4:5]
	v_add_f64 v[4:5], v[12:13], v[0:1]
	v_add_f64 v[0:1], v[2:3], -v[8:9]
	v_accvgpr_read_b32 v8, a98
	v_mul_f64 v[214:215], v[82:83], s[30:31]
	v_mul_f64 v[14:15], v[82:83], s[40:41]
	;; [unrolled: 1-line block ×3, first 2 shown]
	v_accvgpr_read_b32 v9, a99
	v_add_f64 v[8:9], v[8:9], -v[82:83]
	v_accvgpr_read_b32 v83, a49
	v_accvgpr_read_b32 v81, a67
	;; [unrolled: 1-line block ×5, first 2 shown]
	v_add_f64 v[82:83], v[82:83], -v[238:239]
	v_add_f64 v[2:3], v[188:189], -v[252:253]
	v_accvgpr_read_b32 v13, a83
	v_add_f64 v[80:81], v[80:81], -v[236:237]
	v_add_f64 v[82:83], v[126:127], v[82:83]
	v_accvgpr_read_b32 v189, a45
	v_add_f64 v[12:13], v[12:13], -v[226:227]
	v_add_f64 v[80:81], v[80:81], v[82:83]
	v_accvgpr_read_b32 v83, a61
	v_accvgpr_read_b32 v188, a44
	v_add_f64 v[12:13], v[12:13], v[80:81]
	v_accvgpr_read_b32 v81, a77
	v_accvgpr_read_b32 v82, a60
	v_add_f64 v[188:189], v[242:243], v[188:189]
	v_accvgpr_read_b32 v80, a76
	v_add_f64 v[82:83], v[232:233], v[82:83]
	v_add_f64 v[188:189], v[124:125], v[188:189]
	;; [unrolled: 1-line block ×3, first 2 shown]
	v_accvgpr_read_b32 v12, a88
	v_add_f64 v[80:81], v[246:247], v[80:81]
	v_add_f64 v[82:83], v[82:83], v[188:189]
	v_accvgpr_read_b32 v13, a89
	v_add_f64 v[80:81], v[80:81], v[82:83]
	v_accvgpr_read_b32 v83, a53
	;; [unrolled: 2-line block ×4, first 2 shown]
	v_add_f64 v[82:83], v[82:83], -v[184:185]
	v_accvgpr_read_b32 v185, a41
	v_add_f64 v[2:3], v[2:3], v[8:9]
	v_accvgpr_read_b32 v8, a106
	v_accvgpr_read_b32 v81, a85
	;; [unrolled: 1-line block ×4, first 2 shown]
	v_add_f64 v[14:15], v[80:81], -v[14:15]
	v_accvgpr_read_b32 v81, a69
	v_add_f64 v[184:185], v[184:185], -v[222:223]
	v_add_f64 v[8:9], v[198:199], v[8:9]
	v_accvgpr_read_b32 v80, a68
	v_add_f64 v[184:185], v[126:127], v[184:185]
	v_add_f64 v[8:9], v[8:9], v[12:13]
	v_accvgpr_read_b32 v12, a100
	v_add_f64 v[80:81], v[80:81], -v[208:209]
	v_add_f64 v[82:83], v[82:83], v[184:185]
	v_mul_f64 v[192:193], v[210:211], s[28:29]
	v_mul_f64 v[26:27], v[210:211], s[2:3]
	;; [unrolled: 1-line block ×3, first 2 shown]
	v_accvgpr_read_b32 v13, a101
	v_add_f64 v[80:81], v[80:81], v[82:83]
	v_add_f64 v[2:3], v[0:1], v[2:3]
	;; [unrolled: 1-line block ×3, first 2 shown]
	v_add_f64 v[12:13], v[12:13], -v[244:245]
	v_add_f64 v[14:15], v[14:15], v[80:81]
	v_add_f64 v[0:1], v[0:1], v[8:9]
	v_add_f64 v[8:9], v[190:191], -v[186:187]
	v_add_f64 v[12:13], v[12:13], v[14:15]
	v_accvgpr_read_b32 v185, a39
	v_add_f64 v[14:15], v[8:9], v[12:13]
	v_accvgpr_read_b32 v8, a108
	v_accvgpr_read_b32 v83, a51
	;; [unrolled: 1-line block ×6, first 2 shown]
	v_add_f64 v[184:185], v[200:201], v[184:185]
	v_add_f64 v[8:9], v[26:27], v[8:9]
	v_accvgpr_read_b32 v26, a78
	v_accvgpr_read_b32 v80, a62
	v_add_f64 v[82:83], v[230:231], v[82:83]
	v_add_f64 v[184:185], v[124:125], v[184:185]
	v_accvgpr_read_b32 v27, a79
	v_add_f64 v[80:81], v[218:219], v[80:81]
	v_add_f64 v[82:83], v[82:83], v[184:185]
	;; [unrolled: 3-line block ×3, first 2 shown]
	v_accvgpr_read_b32 v83, a47
	v_accvgpr_read_b32 v186, a36
	v_add_f64 v[26:27], v[26:27], v[80:81]
	v_accvgpr_read_b32 v81, a59
	v_accvgpr_read_b32 v82, a46
	v_add_f64 v[28:29], v[186:187], -v[28:29]
	v_accvgpr_read_b32 v12, a90
	v_accvgpr_read_b32 v80, a58
	v_add_f64 v[82:83], v[82:83], -v[182:183]
	v_add_f64 v[28:29], v[126:127], v[28:29]
	v_accvgpr_read_b32 v13, a91
	v_add_f64 v[80:81], v[80:81], -v[220:221]
	v_add_f64 v[28:29], v[82:83], v[28:29]
	v_add_f64 v[12:13], v[250:251], v[12:13]
	v_add_f64 v[28:29], v[80:81], v[28:29]
	v_accvgpr_read_b32 v81, a55
	v_add_f64 v[12:13], v[12:13], v[26:27]
	v_accvgpr_read_b32 v80, a54
	v_add_f64 v[12:13], v[8:9], v[12:13]
	;; [unrolled: 2-line block ×3, first 2 shown]
	v_accvgpr_read_b32 v81, a43
	v_accvgpr_read_b32 v9, a103
	;; [unrolled: 1-line block ×4, first 2 shown]
	v_add_f64 v[8:9], v[8:9], -v[24:25]
	v_accvgpr_read_b32 v24, a86
	v_accvgpr_read_b32 v27, a71
	v_add_f64 v[10:11], v[10:11], v[80:81]
	v_accvgpr_read_b32 v81, a35
	v_accvgpr_read_b32 v82, a110
	;; [unrolled: 1-line block ×3, first 2 shown]
	v_add_f64 v[26:27], v[26:27], -v[214:215]
	v_accvgpr_read_b32 v80, a34
	v_accvgpr_read_b32 v83, a111
	v_add_f64 v[24:25], v[24:25], -v[228:229]
	v_add_f64 v[26:27], v[26:27], v[28:29]
	v_add_f64 v[80:81], v[82:83], v[80:81]
	;; [unrolled: 1-line block ×3, first 2 shown]
	v_accvgpr_read_b32 v28, a64
	v_add_f64 v[80:81], v[124:125], v[80:81]
	v_add_f64 v[26:27], v[8:9], v[24:25]
	v_accvgpr_read_b32 v24, a80
	v_accvgpr_read_b32 v29, a65
	v_add_f64 v[10:11], v[10:11], v[80:81]
	v_accvgpr_read_b32 v8, a94
	v_accvgpr_read_b32 v25, a81
	v_add_f64 v[28:29], v[212:213], v[28:29]
	v_add_f64 v[10:11], v[30:31], v[10:11]
	v_accvgpr_read_b32 v9, a95
	v_add_f64 v[24:25], v[206:207], v[24:25]
	v_add_f64 v[10:11], v[28:29], v[10:11]
	;; [unrolled: 1-line block ×27, first 2 shown]
	v_accvgpr_read_b32 v255, a9
	v_accvgpr_read_b32 v251, a5
	;; [unrolled: 1-line block ×3, first 2 shown]
	v_add_f64 v[8:9], v[112:113], v[8:9]
	v_accvgpr_read_b32 v28, a1
	v_accvgpr_read_b32 v254, a8
	v_accvgpr_read_b32 v253, a7
	v_accvgpr_read_b32 v252, a6
	v_mov_b32_e32 v247, v181
	v_accvgpr_read_b32 v246, a0
	v_accvgpr_read_b32 v243, a27
	;; [unrolled: 1-line block ×9, first 2 shown]
	v_add_f64 v[8:9], v[116:117], v[8:9]
	v_lshlrev_b32_e32 v28, 4, v28
	ds_write_b128 v28, v[8:11]
	ds_write_b128 v28, v[24:27] offset:16
	ds_write_b128 v28, v[12:15] offset:32
	;; [unrolled: 1-line block ×12, first 2 shown]
.LBB0_17:
	s_or_b64 exec, exec, s[16:17]
	s_waitcnt lgkmcnt(0)
	s_barrier
	ds_read_b128 v[0:3], v180
	ds_read_b128 v[4:7], v180 offset:2912
	ds_read_b128 v[8:11], v180 offset:5824
	;; [unrolled: 1-line block ×7, first 2 shown]
	s_waitcnt lgkmcnt(5)
	v_mul_f64 v[104:105], v[22:23], v[10:11]
	v_fmac_f64_e32 v[104:105], v[20:21], v[8:9]
	v_mul_f64 v[8:9], v[22:23], v[8:9]
	v_fma_f64 v[8:9], v[20:21], v[10:11], -v[8:9]
	s_waitcnt lgkmcnt(3)
	v_mul_f64 v[10:11], v[18:19], v[26:27]
	v_fmac_f64_e32 v[10:11], v[16:17], v[24:25]
	v_mul_f64 v[18:19], v[18:19], v[24:25]
	v_mul_f64 v[24:25], v[46:47], v[14:15]
	v_fma_f64 v[16:17], v[16:17], v[26:27], -v[18:19]
	s_waitcnt lgkmcnt(1)
	v_mul_f64 v[18:19], v[34:35], v[82:83]
	v_mul_f64 v[20:21], v[34:35], v[80:81]
	v_fmac_f64_e32 v[24:25], v[44:45], v[12:13]
	v_mul_f64 v[12:13], v[46:47], v[12:13]
	v_fmac_f64_e32 v[18:19], v[32:33], v[80:81]
	v_fma_f64 v[20:21], v[32:33], v[82:83], -v[20:21]
	v_fma_f64 v[26:27], v[44:45], v[14:15], -v[12:13]
	v_mul_f64 v[32:33], v[42:43], v[30:31]
	v_mul_f64 v[12:13], v[42:43], v[28:29]
	v_fmac_f64_e32 v[32:33], v[40:41], v[28:29]
	v_fma_f64 v[28:29], v[40:41], v[30:31], -v[12:13]
	s_waitcnt lgkmcnt(0)
	v_mul_f64 v[12:13], v[38:39], v[100:101]
	v_add_f64 v[22:23], v[0:1], -v[10:11]
	v_add_f64 v[16:17], v[2:3], -v[16:17]
	;; [unrolled: 1-line block ×4, first 2 shown]
	v_mul_f64 v[30:31], v[38:39], v[102:103]
	v_fma_f64 v[34:35], v[36:37], v[102:103], -v[12:13]
	v_fma_f64 v[10:11], v[0:1], 2.0, -v[22:23]
	v_fma_f64 v[12:13], v[2:3], 2.0, -v[16:17]
	;; [unrolled: 1-line block ×4, first 2 shown]
	v_fmac_f64_e32 v[30:31], v[36:37], v[100:101]
	v_add_f64 v[0:1], v[10:11], -v[0:1]
	v_add_f64 v[2:3], v[12:13], -v[2:3]
	v_fma_f64 v[8:9], v[10:11], 2.0, -v[0:1]
	v_fma_f64 v[10:11], v[12:13], 2.0, -v[2:3]
	v_add_f64 v[12:13], v[22:23], v[18:19]
	v_add_f64 v[14:15], v[16:17], -v[14:15]
	v_add_f64 v[32:33], v[4:5], -v[32:33]
	;; [unrolled: 1-line block ×5, first 2 shown]
	v_fma_f64 v[20:21], v[22:23], 2.0, -v[12:13]
	v_fma_f64 v[22:23], v[16:17], 2.0, -v[14:15]
	v_fma_f64 v[16:17], v[4:5], 2.0, -v[32:33]
	v_fma_f64 v[18:19], v[6:7], 2.0, -v[36:37]
	v_fma_f64 v[4:5], v[24:25], 2.0, -v[28:29]
	v_fma_f64 v[6:7], v[26:27], 2.0, -v[30:31]
	v_add_f64 v[4:5], v[16:17], -v[4:5]
	v_add_f64 v[6:7], v[18:19], -v[6:7]
	v_fma_f64 v[24:25], v[16:17], 2.0, -v[4:5]
	v_fma_f64 v[26:27], v[18:19], 2.0, -v[6:7]
	v_add_f64 v[16:17], v[32:33], v[30:31]
	v_add_f64 v[18:19], v[36:37], -v[28:29]
	v_fma_f64 v[28:29], v[32:33], 2.0, -v[16:17]
	v_fma_f64 v[30:31], v[36:37], 2.0, -v[18:19]
	s_barrier
	ds_write_b128 v242, v[8:11]
	ds_write_b128 v242, v[20:23] offset:208
	ds_write_b128 v242, v[0:3] offset:416
	ds_write_b128 v242, v[12:15] offset:624
	ds_write_b128 v243, v[24:27]
	ds_write_b128 v243, v[28:31] offset:208
	ds_write_b128 v243, v[4:7] offset:416
	ds_write_b128 v243, v[16:19] offset:624
	s_waitcnt lgkmcnt(0)
	s_barrier
	ds_read_b128 v[20:23], v180
	ds_read_b128 v[104:107], v180 offset:3328
	ds_read_b128 v[100:103], v180 offset:6656
	;; [unrolled: 1-line block ×6, first 2 shown]
	s_and_saveexec_b64 s[2:3], s[0:1]
	s_cbranch_execz .LBB0_19
; %bb.18:
	ds_read_b128 v[16:19], v180 offset:2912
	ds_read_b128 v[160:163], v180 offset:6240
	;; [unrolled: 1-line block ×7, first 2 shown]
.LBB0_19:
	s_or_b64 exec, exec, s[2:3]
	s_waitcnt lgkmcnt(5)
	v_mul_f64 v[0:1], v[62:63], v[106:107]
	s_waitcnt lgkmcnt(4)
	v_mul_f64 v[4:5], v[58:59], v[102:103]
	;; [unrolled: 2-line block ×4, first 2 shown]
	v_fmac_f64_e32 v[0:1], v[60:61], v[104:105]
	v_mul_f64 v[2:3], v[62:63], v[104:105]
	v_fmac_f64_e32 v[4:5], v[56:57], v[100:101]
	v_mul_f64 v[6:7], v[58:59], v[100:101]
	v_mul_f64 v[8:9], v[54:55], v[46:47]
	;; [unrolled: 1-line block ×3, first 2 shown]
	v_fmac_f64_e32 v[24:25], v[68:69], v[36:37]
	v_mul_f64 v[26:27], v[70:71], v[36:37]
	v_fmac_f64_e32 v[28:29], v[64:65], v[32:33]
	v_mul_f64 v[30:31], v[66:67], v[32:33]
	v_fma_f64 v[2:3], v[60:61], v[106:107], -v[2:3]
	v_fma_f64 v[6:7], v[56:57], v[102:103], -v[6:7]
	v_fmac_f64_e32 v[8:9], v[52:53], v[44:45]
	v_mul_f64 v[10:11], v[54:55], v[44:45]
	v_fmac_f64_e32 v[12:13], v[48:49], v[40:41]
	v_mul_f64 v[14:15], v[50:51], v[40:41]
	v_fma_f64 v[26:27], v[68:69], v[38:39], -v[26:27]
	v_fma_f64 v[30:31], v[64:65], v[34:35], -v[30:31]
	v_add_f64 v[32:33], v[0:1], v[28:29]
	v_add_f64 v[0:1], v[0:1], -v[28:29]
	v_add_f64 v[28:29], v[4:5], v[24:25]
	v_fma_f64 v[10:11], v[52:53], v[46:47], -v[10:11]
	v_fma_f64 v[14:15], v[48:49], v[42:43], -v[14:15]
	v_add_f64 v[34:35], v[2:3], v[30:31]
	v_add_f64 v[2:3], v[2:3], -v[30:31]
	v_add_f64 v[30:31], v[6:7], v[26:27]
	v_add_f64 v[4:5], v[4:5], -v[24:25]
	;; [unrolled: 2-line block ×5, first 2 shown]
	v_add_f64 v[14:15], v[30:31], v[34:35]
	v_add_f64 v[40:41], v[8:9], v[4:5]
	;; [unrolled: 1-line block ×3, first 2 shown]
	v_add_f64 v[36:37], v[28:29], -v[32:33]
	v_add_f64 v[32:33], v[32:33], -v[24:25]
	;; [unrolled: 1-line block ×3, first 2 shown]
	v_add_f64 v[42:43], v[10:11], v[6:7]
	v_add_f64 v[44:45], v[8:9], -v[4:5]
	v_add_f64 v[8:9], v[0:1], -v[8:9]
	;; [unrolled: 1-line block ×3, first 2 shown]
	v_add_f64 v[14:15], v[26:27], v[14:15]
	v_add_f64 v[24:25], v[40:41], v[0:1]
	;; [unrolled: 1-line block ×3, first 2 shown]
	s_mov_b32 s14, 0x37e14327
	s_mov_b32 s16, 0x36b3c0b5
	;; [unrolled: 1-line block ×5, first 2 shown]
	v_add_f64 v[38:39], v[30:31], -v[34:35]
	v_add_f64 v[34:35], v[34:35], -v[26:27]
	;; [unrolled: 1-line block ×6, first 2 shown]
	v_add_f64 v[26:27], v[42:43], v[2:3]
	v_add_f64 v[2:3], v[22:23], v[14:15]
	s_mov_b32 s15, 0x3fe948f6
	s_mov_b32 s17, 0x3fac98ee
	;; [unrolled: 1-line block ×5, first 2 shown]
	v_mov_b64_e32 v[48:49], v[0:1]
	s_mov_b32 s10, 0x5476071b
	s_mov_b32 s28, 0xb247c609
	v_mul_f64 v[20:21], v[32:33], s[14:15]
	v_mul_f64 v[22:23], v[34:35], s[14:15]
	;; [unrolled: 1-line block ×8, first 2 shown]
	v_fmac_f64_e32 v[48:49], s[26:27], v[12:13]
	v_mov_b64_e32 v[12:13], v[2:3]
	s_mov_b32 s11, 0x3fe77f67
	s_mov_b32 s21, 0xbfe77f67
	;; [unrolled: 1-line block ×7, first 2 shown]
	v_fmac_f64_e32 v[12:13], s[26:27], v[14:15]
	v_fma_f64 v[14:15], v[36:37], s[10:11], -v[32:33]
	v_fma_f64 v[32:33], v[38:39], s[10:11], -v[34:35]
	;; [unrolled: 1-line block ×3, first 2 shown]
	v_fmac_f64_e32 v[20:21], s[16:17], v[28:29]
	v_fma_f64 v[28:29], v[38:39], s[20:21], -v[22:23]
	v_fmac_f64_e32 v[22:23], s[16:17], v[30:31]
	v_fma_f64 v[38:39], v[8:9], s[24:25], -v[44:45]
	v_fma_f64 v[44:45], v[10:11], s[24:25], -v[46:47]
	s_mov_b32 s23, 0xbfdc38aa
	v_fma_f64 v[30:31], v[4:5], s[2:3], -v[40:41]
	v_fmac_f64_e32 v[40:41], s[28:29], v[8:9]
	v_fma_f64 v[36:37], v[6:7], s[2:3], -v[42:43]
	v_fmac_f64_e32 v[42:43], s[28:29], v[10:11]
	v_add_f64 v[50:51], v[22:23], v[12:13]
	v_add_f64 v[22:23], v[32:33], v[12:13]
	;; [unrolled: 1-line block ×3, first 2 shown]
	v_fmac_f64_e32 v[44:45], s[22:23], v[26:27]
	v_add_f64 v[46:47], v[20:21], v[48:49]
	v_add_f64 v[20:21], v[14:15], v[48:49]
	;; [unrolled: 1-line block ×3, first 2 shown]
	v_fmac_f64_e32 v[40:41], s[22:23], v[24:25]
	v_fmac_f64_e32 v[42:43], s[22:23], v[26:27]
	;; [unrolled: 1-line block ×5, first 2 shown]
	v_add_f64 v[8:9], v[44:45], v[32:33]
	v_add_f64 v[24:25], v[32:33], -v[44:45]
	v_accvgpr_read_b32 v32, a29
	v_add_f64 v[4:5], v[42:43], v[46:47]
	v_add_f64 v[6:7], v[50:51], -v[40:41]
	v_add_f64 v[10:11], v[28:29], -v[38:39]
	;; [unrolled: 1-line block ×3, first 2 shown]
	v_add_f64 v[14:15], v[30:31], v[22:23]
	v_add_f64 v[20:21], v[36:37], v[20:21]
	v_add_f64 v[22:23], v[22:23], -v[30:31]
	v_add_f64 v[26:27], v[38:39], v[28:29]
	v_add_f64 v[28:29], v[46:47], -v[42:43]
	v_add_f64 v[30:31], v[40:41], v[50:51]
	s_barrier
	ds_write_b128 v32, v[0:3]
	ds_write_b128 v32, v[4:7] offset:832
	ds_write_b128 v32, v[8:11] offset:1664
	;; [unrolled: 1-line block ×6, first 2 shown]
	s_and_saveexec_b64 s[30:31], s[0:1]
	s_cbranch_execz .LBB0_21
; %bb.20:
	v_accvgpr_read_b32 v37, a17
	v_accvgpr_read_b32 v51, a25
	;; [unrolled: 1-line block ×10, first 2 shown]
	v_mul_f64 v[0:1], v[36:37], v[162:163]
	v_accvgpr_read_b32 v49, a23
	v_accvgpr_read_b32 v48, a22
	v_mul_f64 v[4:5], v[50:51], v[184:185]
	v_mul_f64 v[10:11], v[250:251], v[166:167]
	;; [unrolled: 1-line block ×3, first 2 shown]
	v_accvgpr_read_b32 v41, a11
	v_accvgpr_read_b32 v40, a10
	v_mul_f64 v[20:21], v[42:43], v[158:159]
	v_accvgpr_read_b32 v45, a19
	v_accvgpr_read_b32 v44, a18
	v_mul_f64 v[22:23], v[46:47], v[170:171]
	v_fmac_f64_e32 v[0:1], v[34:35], v[160:161]
	v_fmac_f64_e32 v[4:5], v[48:49], v[182:183]
	;; [unrolled: 1-line block ×6, first 2 shown]
	v_add_f64 v[8:9], v[0:1], -v[4:5]
	v_add_f64 v[2:3], v[10:11], -v[12:13]
	;; [unrolled: 1-line block ×5, first 2 shown]
	v_add_f64 v[2:3], v[2:3], v[24:25]
	v_add_f64 v[30:31], v[2:3], v[8:9]
	v_mul_f64 v[2:3], v[50:51], v[182:183]
	v_fma_f64 v[32:33], v[48:49], v[184:185], -v[2:3]
	v_mul_f64 v[2:3], v[36:37], v[160:161]
	v_fma_f64 v[34:35], v[34:35], v[162:163], -v[2:3]
	v_mul_f64 v[2:3], v[46:47], v[168:169]
	v_mul_f64 v[26:27], v[6:7], s[18:19]
	v_fma_f64 v[38:39], v[44:45], v[170:171], -v[2:3]
	v_mul_f64 v[2:3], v[42:43], v[156:157]
	v_mul_f64 v[6:7], v[254:255], v[152:153]
	v_fma_f64 v[40:41], v[40:41], v[158:159], -v[2:3]
	v_fma_f64 v[44:45], v[252:253], v[154:155], -v[6:7]
	v_mul_f64 v[6:7], v[250:251], v[164:165]
	v_add_f64 v[54:55], v[0:1], v[4:5]
	v_add_f64 v[20:21], v[20:21], v[22:23]
	;; [unrolled: 1-line block ×4, first 2 shown]
	v_fma_f64 v[46:47], v[248:249], v[166:167], -v[6:7]
	v_add_f64 v[0:1], v[20:21], v[54:55]
	v_add_f64 v[4:5], v[12:13], v[10:11]
	;; [unrolled: 1-line block ×8, first 2 shown]
	v_mov_b64_e32 v[12:13], v[0:1]
	v_mov_b64_e32 v[18:19], v[2:3]
	v_fmac_f64_e32 v[12:13], s[26:27], v[10:11]
	v_add_f64 v[10:11], v[54:55], -v[4:5]
	v_add_f64 v[24:25], v[24:25], -v[8:9]
	v_fmac_f64_e32 v[18:19], s[26:27], v[48:49]
	v_add_f64 v[48:49], v[36:37], -v[6:7]
	v_mul_f64 v[16:17], v[10:11], s[14:15]
	v_add_f64 v[4:5], v[4:5], -v[20:21]
	v_mul_f64 v[8:9], v[24:25], s[2:3]
	v_fma_f64 v[28:29], s[28:29], v[14:15], v[26:27]
	v_mul_f64 v[48:49], v[48:49], s[14:15]
	v_mul_f64 v[22:23], v[4:5], s[16:17]
	v_fma_f64 v[4:5], s[16:17], v[4:5], v[16:17]
	v_fma_f64 v[58:59], v[14:15], s[24:25], -v[8:9]
	v_add_f64 v[14:15], v[42:43], -v[36:37]
	v_add_f64 v[56:57], v[4:5], v[12:13]
	v_add_f64 v[32:33], v[34:35], -v[32:33]
	v_add_f64 v[4:5], v[46:47], -v[44:45]
	;; [unrolled: 1-line block ×3, first 2 shown]
	v_fma_f64 v[8:9], v[14:15], s[20:21], -v[48:49]
	v_add_f64 v[20:21], v[20:21], -v[54:55]
	v_add_f64 v[6:7], v[6:7], -v[42:43]
	;; [unrolled: 1-line block ×3, first 2 shown]
	v_add_f64 v[36:37], v[8:9], v[18:19]
	v_fma_f64 v[8:9], v[20:21], s[20:21], -v[16:17]
	v_add_f64 v[16:17], v[38:39], -v[32:33]
	v_mul_f64 v[50:51], v[6:7], s[16:17]
	v_fma_f64 v[6:7], s[16:17], v[6:7], v[48:49]
	v_add_f64 v[34:35], v[32:33], -v[4:5]
	v_mul_f64 v[40:41], v[10:11], s[18:19]
	v_add_f64 v[4:5], v[4:5], v[38:39]
	v_add_f64 v[42:43], v[8:9], v[12:13]
	v_mul_f64 v[8:9], v[16:17], s[2:3]
	v_fmac_f64_e32 v[28:29], s[22:23], v[30:31]
	v_add_f64 v[52:53], v[6:7], v[18:19]
	v_fma_f64 v[44:45], s[28:29], v[34:35], v[40:41]
	v_add_f64 v[46:47], v[4:5], v[32:33]
	v_fma_f64 v[32:33], v[34:35], s[24:25], -v[8:9]
	v_fma_f64 v[14:15], v[14:15], s[10:11], -v[50:51]
	;; [unrolled: 1-line block ×5, first 2 shown]
	v_add_f64 v[6:7], v[28:29], v[52:53]
	v_fmac_f64_e32 v[44:45], s[22:23], v[46:47]
	v_fmac_f64_e32 v[58:59], s[22:23], v[30:31]
	v_fmac_f64_e32 v[32:33], s[22:23], v[46:47]
	v_add_f64 v[18:19], v[14:15], v[18:19]
	v_fmac_f64_e32 v[24:25], s[22:23], v[30:31]
	v_add_f64 v[20:21], v[20:21], v[12:13]
	v_fmac_f64_e32 v[16:17], s[22:23], v[46:47]
	v_add_f64 v[26:27], v[52:53], -v[28:29]
	v_accvgpr_read_b32 v28, a28
	v_add_f64 v[4:5], v[56:57], -v[44:45]
	v_add_f64 v[10:11], v[58:59], v[36:37]
	v_add_f64 v[8:9], v[42:43], -v[32:33]
	v_add_f64 v[14:15], v[18:19], -v[24:25]
	v_add_f64 v[12:13], v[16:17], v[20:21]
	v_add_f64 v[18:19], v[24:25], v[18:19]
	v_add_f64 v[16:17], v[20:21], -v[16:17]
	v_add_f64 v[22:23], v[36:37], -v[58:59]
	v_add_f64 v[20:21], v[32:33], v[42:43]
	v_add_f64 v[24:25], v[44:45], v[56:57]
	ds_write_b128 v28, v[0:3] offset:17472
	ds_write_b128 v28, v[24:27] offset:18304
	;; [unrolled: 1-line block ×7, first 2 shown]
.LBB0_21:
	s_or_b64 exec, exec, s[30:31]
	s_waitcnt lgkmcnt(0)
	s_barrier
	ds_read_b128 v[0:3], v180
	ds_read_b128 v[4:7], v180 offset:2912
	ds_read_b128 v[8:11], v180 offset:11648
	;; [unrolled: 1-line block ×7, first 2 shown]
	s_waitcnt lgkmcnt(5)
	v_mul_f64 v[32:33], v[74:75], v[10:11]
	v_fmac_f64_e32 v[32:33], v[72:73], v[8:9]
	v_mul_f64 v[8:9], v[74:75], v[8:9]
	v_fma_f64 v[10:11], v[72:73], v[10:11], -v[8:9]
	s_waitcnt lgkmcnt(4)
	v_mul_f64 v[8:9], v[78:79], v[12:13]
	v_mul_f64 v[34:35], v[78:79], v[14:15]
	v_fma_f64 v[14:15], v[76:77], v[14:15], -v[8:9]
	s_waitcnt lgkmcnt(1)
	v_mul_f64 v[8:9], v[74:75], v[24:25]
	;; [unrolled: 4-line block ×3, first 2 shown]
	v_mul_f64 v[8:9], v[78:79], v[28:29]
	v_fmac_f64_e32 v[34:35], v[76:77], v[12:13]
	v_fmac_f64_e32 v[36:37], v[72:73], v[24:25]
	;; [unrolled: 1-line block ×3, first 2 shown]
	v_fma_f64 v[30:31], v[76:77], v[30:31], -v[8:9]
	v_add_f64 v[8:9], v[0:1], -v[32:33]
	v_add_f64 v[10:11], v[2:3], -v[10:11]
	;; [unrolled: 1-line block ×8, first 2 shown]
	v_fma_f64 v[0:1], v[0:1], 2.0, -v[8:9]
	v_fma_f64 v[2:3], v[2:3], 2.0, -v[10:11]
	v_fma_f64 v[4:5], v[4:5], 2.0, -v[12:13]
	v_fma_f64 v[6:7], v[6:7], 2.0, -v[14:15]
	v_fma_f64 v[16:17], v[16:17], 2.0, -v[24:25]
	v_fma_f64 v[18:19], v[18:19], 2.0, -v[26:27]
	v_fma_f64 v[20:21], v[20:21], 2.0, -v[28:29]
	v_fma_f64 v[22:23], v[22:23], 2.0, -v[30:31]
	s_barrier
	ds_write_b128 v180, v[0:3]
	ds_write_b128 v180, v[8:11] offset:5824
	ds_write_b128 v180, v[4:7] offset:2912
	;; [unrolled: 1-line block ×7, first 2 shown]
	s_waitcnt lgkmcnt(0)
	s_barrier
	ds_read_b128 v[0:3], v180
	ds_read_b128 v[4:7], v180 offset:2912
	ds_read_b128 v[8:11], v180 offset:11648
	;; [unrolled: 1-line block ×7, first 2 shown]
	s_waitcnt lgkmcnt(5)
	v_mul_f64 v[32:33], v[94:95], v[10:11]
	v_fmac_f64_e32 v[32:33], v[92:93], v[8:9]
	v_mul_f64 v[8:9], v[94:95], v[8:9]
	v_fma_f64 v[10:11], v[92:93], v[10:11], -v[8:9]
	s_waitcnt lgkmcnt(4)
	v_mul_f64 v[8:9], v[86:87], v[12:13]
	v_mul_f64 v[34:35], v[86:87], v[14:15]
	v_fma_f64 v[14:15], v[84:85], v[14:15], -v[8:9]
	s_waitcnt lgkmcnt(1)
	v_mul_f64 v[8:9], v[90:91], v[24:25]
	;; [unrolled: 4-line block ×3, first 2 shown]
	v_mul_f64 v[8:9], v[98:99], v[28:29]
	v_fmac_f64_e32 v[34:35], v[84:85], v[12:13]
	v_fmac_f64_e32 v[36:37], v[88:89], v[24:25]
	v_fmac_f64_e32 v[38:39], v[96:97], v[28:29]
	v_fma_f64 v[30:31], v[96:97], v[30:31], -v[8:9]
	v_add_f64 v[8:9], v[0:1], -v[32:33]
	v_add_f64 v[10:11], v[2:3], -v[10:11]
	v_fma_f64 v[0:1], v[0:1], 2.0, -v[8:9]
	v_fma_f64 v[2:3], v[2:3], 2.0, -v[10:11]
	v_add_f64 v[12:13], v[4:5], -v[34:35]
	v_add_f64 v[14:15], v[6:7], -v[14:15]
	;; [unrolled: 1-line block ×6, first 2 shown]
	v_fma_f64 v[4:5], v[4:5], 2.0, -v[12:13]
	v_fma_f64 v[6:7], v[6:7], 2.0, -v[14:15]
	;; [unrolled: 1-line block ×6, first 2 shown]
	ds_write_b128 v180, v[0:3]
	ds_write_b128 v180, v[8:11] offset:11648
	ds_write_b128 v180, v[4:7] offset:2912
	;; [unrolled: 1-line block ×7, first 2 shown]
	s_waitcnt lgkmcnt(0)
	s_barrier
	s_and_b64 exec, exec, vcc
	s_cbranch_execz .LBB0_23
; %bb.22:
	v_mov_b32_e32 v181, 0
	s_movk_i32 s0, 0x1000
	v_lshl_add_u64 v[40:41], s[8:9], 0, v[180:181]
	global_load_dwordx4 v[0:3], v180, s[8:9]
	global_load_dwordx4 v[4:7], v180, s[8:9] offset:1792
	global_load_dwordx4 v[8:11], v180, s[8:9] offset:3584
	v_add_co_u32_e32 v16, vcc, s0, v40
	v_mad_u64_u32 v[46:47], s[2:3], s4, v247, 0
	s_nop 0
	v_addc_co_u32_e32 v17, vcc, 0, v41, vcc
	global_load_dwordx4 v[12:15], v[16:17], off offset:1280
	s_movk_i32 s3, 0x2000
	global_load_dwordx4 v[16:19], v[16:17], off offset:3072
	v_add_co_u32_e32 v56, vcc, s3, v40
	ds_read_b128 v[28:31], v180
	ds_read_b128 v[24:27], v180 offset:1792
	v_addc_co_u32_e32 v57, vcc, 0, v41, vcc
	global_load_dwordx4 v[20:23], v[56:57], off offset:768
	v_mad_u64_u32 v[44:45], s[0:1], s6, v246, 0
	v_or_b32_e32 v77, 0x380, v247
	v_mov_b32_e32 v52, v45
	v_mov_b32_e32 v54, v47
	v_lshlrev_b32_e32 v45, 4, v77
	v_mad_u64_u32 v[58:59], s[6:7], s7, v246, v[52:53]
	ds_read_b128 v[36:39], v180 offset:3584
	ds_read_b128 v[32:35], v180 offset:5376
	v_mad_u64_u32 v[60:61], s[6:7], s5, v247, v[54:55]
	global_load_dwordx4 v[52:55], v45, s[8:9]
	v_mov_b32_e32 v45, v58
	global_load_dwordx4 v[56:59], v[56:57], off offset:2560
	s_movk_i32 s3, 0x3000
	v_add_co_u32_e32 v68, vcc, s3, v40
	ds_read_b128 v[48:51], v180 offset:21504
	s_nop 0
	v_addc_co_u32_e32 v69, vcc, 0, v41, vcc
	v_mov_b32_e32 v47, v60
	global_load_dwordx4 v[60:63], v[68:69], off offset:256
	global_load_dwordx4 v[64:67], v[68:69], off offset:3840
	v_mov_b32_e32 v42, s12
	v_mov_b32_e32 v43, s13
	v_lshl_add_u64 v[42:43], v[44:45], 4, v[42:43]
	v_mov_b32_e32 v76, 0x700
	v_lshl_add_u64 v[44:45], v[46:47], 4, v[42:43]
	s_mov_b32 s0, 0x16816817
	s_mul_i32 s2, s5, 0x700
	v_mad_u64_u32 v[46:47], s[6:7], s4, v76, v[44:45]
	s_mov_b32 s1, 0x3f468168
	v_add_u32_e32 v47, s2, v47
	v_mad_u64_u32 v[68:69], s[6:7], s4, v76, v[46:47]
	v_add_u32_e32 v69, s2, v69
	s_movk_i32 s3, 0x4000
	s_waitcnt vmcnt(9) lgkmcnt(4)
	v_mul_f64 v[70:71], v[30:31], v[2:3]
	v_mul_f64 v[2:3], v[28:29], v[2:3]
	s_waitcnt vmcnt(8) lgkmcnt(3)
	v_mul_f64 v[72:73], v[26:27], v[6:7]
	v_mul_f64 v[6:7], v[24:25], v[6:7]
	;; [unrolled: 3-line block ×3, first 2 shown]
	v_fmac_f64_e32 v[70:71], v[28:29], v[0:1]
	v_fma_f64 v[2:3], v[0:1], v[30:31], -v[2:3]
	v_fmac_f64_e32 v[72:73], v[24:25], v[4:5]
	v_fma_f64 v[6:7], v[4:5], v[26:27], -v[6:7]
	;; [unrolled: 2-line block ×3, first 2 shown]
	v_mul_f64 v[0:1], v[70:71], s[0:1]
	v_mul_f64 v[2:3], v[2:3], s[0:1]
	v_mul_f64 v[4:5], v[72:73], s[0:1]
	v_mul_f64 v[6:7], v[6:7], s[0:1]
	v_mul_f64 v[8:9], v[74:75], s[0:1]
	v_mul_f64 v[10:11], v[10:11], s[0:1]
	global_store_dwordx4 v[44:45], v[0:3], off
	global_store_dwordx4 v[46:47], v[4:7], off
	;; [unrolled: 1-line block ×3, first 2 shown]
	s_waitcnt vmcnt(9) lgkmcnt(1)
	v_mul_f64 v[0:1], v[34:35], v[14:15]
	v_mul_f64 v[2:3], v[32:33], v[14:15]
	v_fmac_f64_e32 v[0:1], v[32:33], v[12:13]
	v_fma_f64 v[2:3], v[12:13], v[34:35], -v[2:3]
	v_mad_u64_u32 v[24:25], s[6:7], s4, v76, v[68:69]
	v_mul_f64 v[0:1], v[0:1], s[0:1]
	v_mul_f64 v[2:3], v[2:3], s[0:1]
	v_add_u32_e32 v25, s2, v25
	global_store_dwordx4 v[24:25], v[0:3], off
	ds_read_b128 v[0:3], v180 offset:7168
	ds_read_b128 v[4:7], v180 offset:8960
	v_add_co_u32_e32 v26, vcc, s3, v40
	v_mad_u64_u32 v[24:25], s[6:7], s4, v76, v[24:25]
	s_nop 0
	v_addc_co_u32_e32 v27, vcc, 0, v41, vcc
	s_waitcnt vmcnt(9) lgkmcnt(1)
	v_mul_f64 v[12:13], v[2:3], v[18:19]
	global_load_dwordx4 v[8:11], v[26:27], off offset:1536
	v_fmac_f64_e32 v[12:13], v[0:1], v[16:17]
	v_mul_f64 v[0:1], v[0:1], v[18:19]
	v_fma_f64 v[0:1], v[16:17], v[2:3], -v[0:1]
	v_mul_f64 v[12:13], v[12:13], s[0:1]
	v_mul_f64 v[14:15], v[0:1], s[0:1]
	v_add_u32_e32 v25, s2, v25
	s_movk_i32 s3, 0x5000
	global_load_dwordx4 v[0:3], v[26:27], off offset:3328
	s_nop 0
	global_store_dwordx4 v[24:25], v[12:15], off
	v_mad_u64_u32 v[24:25], s[6:7], s4, v76, v[24:25]
	s_nop 0
	v_add_co_u32_e32 v14, vcc, s3, v40
	s_waitcnt vmcnt(11) lgkmcnt(0)
	v_mul_f64 v[12:13], v[6:7], v[22:23]
	v_addc_co_u32_e32 v15, vcc, 0, v41, vcc
	global_load_dwordx4 v[16:19], v[14:15], off offset:1024
	v_fmac_f64_e32 v[12:13], v[4:5], v[20:21]
	v_mul_f64 v[4:5], v[4:5], v[22:23]
	v_fma_f64 v[4:5], v[20:21], v[6:7], -v[4:5]
	v_mul_f64 v[14:15], v[4:5], s[0:1]
	ds_read_b128 v[4:7], v180 offset:10752
	v_mul_f64 v[12:13], v[12:13], s[0:1]
	v_add_u32_e32 v25, s2, v25
	global_store_dwordx4 v[24:25], v[12:15], off
	ds_read_b128 v[12:15], v180 offset:12544
	s_waitcnt vmcnt(11) lgkmcnt(1)
	v_mul_f64 v[20:21], v[6:7], v[58:59]
	v_fmac_f64_e32 v[20:21], v[4:5], v[56:57]
	v_mul_f64 v[4:5], v[4:5], v[58:59]
	v_fma_f64 v[4:5], v[56:57], v[6:7], -v[4:5]
	v_mul_f64 v[22:23], v[4:5], s[0:1]
	s_waitcnt vmcnt(10) lgkmcnt(0)
	v_mul_f64 v[4:5], v[14:15], v[62:63]
	v_mul_f64 v[6:7], v[12:13], v[62:63]
	v_fmac_f64_e32 v[4:5], v[12:13], v[60:61]
	v_fma_f64 v[6:7], v[60:61], v[14:15], -v[6:7]
	ds_read_b128 v[12:15], v180 offset:14336
	v_mad_u64_u32 v[24:25], s[6:7], s4, v76, v[24:25]
	v_mul_f64 v[20:21], v[20:21], s[0:1]
	v_add_u32_e32 v25, s2, v25
	global_store_dwordx4 v[24:25], v[20:23], off
	v_mad_u64_u32 v[24:25], s[6:7], s4, v76, v[24:25]
	v_mul_f64 v[4:5], v[4:5], s[0:1]
	v_mul_f64 v[6:7], v[6:7], s[0:1]
	v_add_u32_e32 v25, s2, v25
	global_store_dwordx4 v[24:25], v[4:7], off
	ds_read_b128 v[4:7], v180 offset:16128
	s_waitcnt lgkmcnt(1)
	v_mul_f64 v[20:21], v[14:15], v[54:55]
	v_fmac_f64_e32 v[20:21], v[12:13], v[52:53]
	v_mul_f64 v[12:13], v[12:13], v[54:55]
	v_fma_f64 v[12:13], v[52:53], v[14:15], -v[12:13]
	v_mul_f64 v[22:23], v[12:13], s[0:1]
	v_mad_u64_u32 v[12:13], s[6:7], s4, v77, 0
	v_mov_b32_e32 v14, v13
	v_mad_u64_u32 v[14:15], s[6:7], s5, v77, v[14:15]
	v_mov_b32_e32 v13, v14
	v_mul_f64 v[20:21], v[20:21], s[0:1]
	v_lshl_add_u64 v[12:13], v[12:13], 4, v[42:43]
	global_store_dwordx4 v[12:13], v[20:23], off
	s_waitcnt vmcnt(12) lgkmcnt(0)
	v_mul_f64 v[12:13], v[6:7], v[66:67]
	v_fmac_f64_e32 v[12:13], v[4:5], v[64:65]
	v_mul_f64 v[4:5], v[4:5], v[66:67]
	v_fma_f64 v[4:5], v[64:65], v[6:7], -v[4:5]
	v_mul_f64 v[14:15], v[4:5], s[0:1]
	v_mov_b32_e32 v4, 0xe00
	v_mad_u64_u32 v[24:25], s[6:7], s4, v4, v[24:25]
	ds_read_b128 v[4:7], v180 offset:17920
	s_mul_i32 s3, s5, 0xe00
	v_mul_f64 v[12:13], v[12:13], s[0:1]
	v_add_u32_e32 v25, s3, v25
	global_store_dwordx4 v[24:25], v[12:15], off
	ds_read_b128 v[12:15], v180 offset:19712
	s_waitcnt vmcnt(8) lgkmcnt(1)
	v_mul_f64 v[20:21], v[6:7], v[10:11]
	v_fmac_f64_e32 v[20:21], v[4:5], v[8:9]
	v_mul_f64 v[4:5], v[4:5], v[10:11]
	v_fma_f64 v[4:5], v[8:9], v[6:7], -v[4:5]
	v_mul_f64 v[22:23], v[4:5], s[0:1]
	v_mad_u64_u32 v[8:9], s[6:7], s4, v76, v[24:25]
	v_mul_f64 v[20:21], v[20:21], s[0:1]
	s_waitcnt vmcnt(7) lgkmcnt(0)
	v_mul_f64 v[4:5], v[14:15], v[2:3]
	v_mul_f64 v[2:3], v[12:13], v[2:3]
	v_add_u32_e32 v9, s2, v9
	v_fmac_f64_e32 v[4:5], v[12:13], v[0:1]
	v_fma_f64 v[0:1], v[0:1], v[14:15], -v[2:3]
	global_store_dwordx4 v[8:9], v[20:23], off
	v_mul_f64 v[6:7], v[0:1], s[0:1]
	v_mad_u64_u32 v[8:9], s[6:7], s4, v76, v[8:9]
	v_mul_f64 v[4:5], v[4:5], s[0:1]
	s_waitcnt vmcnt(6)
	v_mul_f64 v[0:1], v[50:51], v[18:19]
	v_mul_f64 v[2:3], v[48:49], v[18:19]
	v_add_u32_e32 v9, s2, v9
	v_fmac_f64_e32 v[0:1], v[48:49], v[16:17]
	v_fma_f64 v[2:3], v[16:17], v[50:51], -v[2:3]
	global_store_dwordx4 v[8:9], v[4:7], off
	v_mul_f64 v[0:1], v[0:1], s[0:1]
	v_mul_f64 v[2:3], v[2:3], s[0:1]
	v_mad_u64_u32 v[4:5], s[0:1], s4, v76, v[8:9]
	v_add_u32_e32 v5, s2, v5
	global_store_dwordx4 v[4:5], v[0:3], off
.LBB0_23:
	s_endpgm
	.section	.rodata,"a",@progbits
	.p2align	6, 0x0
	.amdhsa_kernel bluestein_single_fwd_len1456_dim1_dp_op_CI_CI
		.amdhsa_group_segment_fixed_size 23296
		.amdhsa_private_segment_fixed_size 0
		.amdhsa_kernarg_size 104
		.amdhsa_user_sgpr_count 2
		.amdhsa_user_sgpr_dispatch_ptr 0
		.amdhsa_user_sgpr_queue_ptr 0
		.amdhsa_user_sgpr_kernarg_segment_ptr 1
		.amdhsa_user_sgpr_dispatch_id 0
		.amdhsa_user_sgpr_kernarg_preload_length 0
		.amdhsa_user_sgpr_kernarg_preload_offset 0
		.amdhsa_user_sgpr_private_segment_size 0
		.amdhsa_uses_dynamic_stack 0
		.amdhsa_enable_private_segment 0
		.amdhsa_system_sgpr_workgroup_id_x 1
		.amdhsa_system_sgpr_workgroup_id_y 0
		.amdhsa_system_sgpr_workgroup_id_z 0
		.amdhsa_system_sgpr_workgroup_info 0
		.amdhsa_system_vgpr_workitem_id 0
		.amdhsa_next_free_vgpr 368
		.amdhsa_next_free_sgpr 50
		.amdhsa_accum_offset 256
		.amdhsa_reserve_vcc 1
		.amdhsa_float_round_mode_32 0
		.amdhsa_float_round_mode_16_64 0
		.amdhsa_float_denorm_mode_32 3
		.amdhsa_float_denorm_mode_16_64 3
		.amdhsa_dx10_clamp 1
		.amdhsa_ieee_mode 1
		.amdhsa_fp16_overflow 0
		.amdhsa_tg_split 0
		.amdhsa_exception_fp_ieee_invalid_op 0
		.amdhsa_exception_fp_denorm_src 0
		.amdhsa_exception_fp_ieee_div_zero 0
		.amdhsa_exception_fp_ieee_overflow 0
		.amdhsa_exception_fp_ieee_underflow 0
		.amdhsa_exception_fp_ieee_inexact 0
		.amdhsa_exception_int_div_zero 0
	.end_amdhsa_kernel
	.text
.Lfunc_end0:
	.size	bluestein_single_fwd_len1456_dim1_dp_op_CI_CI, .Lfunc_end0-bluestein_single_fwd_len1456_dim1_dp_op_CI_CI
                                        ; -- End function
	.section	.AMDGPU.csdata,"",@progbits
; Kernel info:
; codeLenInByte = 21120
; NumSgprs: 56
; NumVgprs: 256
; NumAgprs: 112
; TotalNumVgprs: 368
; ScratchSize: 0
; MemoryBound: 0
; FloatMode: 240
; IeeeMode: 1
; LDSByteSize: 23296 bytes/workgroup (compile time only)
; SGPRBlocks: 6
; VGPRBlocks: 45
; NumSGPRsForWavesPerEU: 56
; NumVGPRsForWavesPerEU: 368
; AccumOffset: 256
; Occupancy: 1
; WaveLimiterHint : 1
; COMPUTE_PGM_RSRC2:SCRATCH_EN: 0
; COMPUTE_PGM_RSRC2:USER_SGPR: 2
; COMPUTE_PGM_RSRC2:TRAP_HANDLER: 0
; COMPUTE_PGM_RSRC2:TGID_X_EN: 1
; COMPUTE_PGM_RSRC2:TGID_Y_EN: 0
; COMPUTE_PGM_RSRC2:TGID_Z_EN: 0
; COMPUTE_PGM_RSRC2:TIDIG_COMP_CNT: 0
; COMPUTE_PGM_RSRC3_GFX90A:ACCUM_OFFSET: 63
; COMPUTE_PGM_RSRC3_GFX90A:TG_SPLIT: 0
	.text
	.p2alignl 6, 3212836864
	.fill 256, 4, 3212836864
	.type	__hip_cuid_f07ae3b42547c5cc,@object ; @__hip_cuid_f07ae3b42547c5cc
	.section	.bss,"aw",@nobits
	.globl	__hip_cuid_f07ae3b42547c5cc
__hip_cuid_f07ae3b42547c5cc:
	.byte	0                               ; 0x0
	.size	__hip_cuid_f07ae3b42547c5cc, 1

	.ident	"AMD clang version 19.0.0git (https://github.com/RadeonOpenCompute/llvm-project roc-6.4.0 25133 c7fe45cf4b819c5991fe208aaa96edf142730f1d)"
	.section	".note.GNU-stack","",@progbits
	.addrsig
	.addrsig_sym __hip_cuid_f07ae3b42547c5cc
	.amdgpu_metadata
---
amdhsa.kernels:
  - .agpr_count:     112
    .args:
      - .actual_access:  read_only
        .address_space:  global
        .offset:         0
        .size:           8
        .value_kind:     global_buffer
      - .actual_access:  read_only
        .address_space:  global
        .offset:         8
        .size:           8
        .value_kind:     global_buffer
      - .actual_access:  read_only
        .address_space:  global
        .offset:         16
        .size:           8
        .value_kind:     global_buffer
      - .actual_access:  read_only
        .address_space:  global
        .offset:         24
        .size:           8
        .value_kind:     global_buffer
      - .actual_access:  read_only
        .address_space:  global
        .offset:         32
        .size:           8
        .value_kind:     global_buffer
      - .offset:         40
        .size:           8
        .value_kind:     by_value
      - .address_space:  global
        .offset:         48
        .size:           8
        .value_kind:     global_buffer
      - .address_space:  global
        .offset:         56
        .size:           8
        .value_kind:     global_buffer
      - .address_space:  global
        .offset:         64
        .size:           8
        .value_kind:     global_buffer
      - .address_space:  global
        .offset:         72
        .size:           8
        .value_kind:     global_buffer
      - .offset:         80
        .size:           4
        .value_kind:     by_value
      - .address_space:  global
        .offset:         88
        .size:           8
        .value_kind:     global_buffer
      - .address_space:  global
        .offset:         96
        .size:           8
        .value_kind:     global_buffer
    .group_segment_fixed_size: 23296
    .kernarg_segment_align: 8
    .kernarg_segment_size: 104
    .language:       OpenCL C
    .language_version:
      - 2
      - 0
    .max_flat_workgroup_size: 182
    .name:           bluestein_single_fwd_len1456_dim1_dp_op_CI_CI
    .private_segment_fixed_size: 0
    .sgpr_count:     56
    .sgpr_spill_count: 0
    .symbol:         bluestein_single_fwd_len1456_dim1_dp_op_CI_CI.kd
    .uniform_work_group_size: 1
    .uses_dynamic_stack: false
    .vgpr_count:     368
    .vgpr_spill_count: 0
    .wavefront_size: 64
amdhsa.target:   amdgcn-amd-amdhsa--gfx950
amdhsa.version:
  - 1
  - 2
...

	.end_amdgpu_metadata
